;; amdgpu-corpus repo=ROCm/rocFFT kind=compiled arch=gfx1201 opt=O3
	.text
	.amdgcn_target "amdgcn-amd-amdhsa--gfx1201"
	.amdhsa_code_object_version 6
	.protected	fft_rtc_fwd_len182_factors_13_2_7_wgs_52_tpt_13_half_op_CI_CI_sbrr_dirReg ; -- Begin function fft_rtc_fwd_len182_factors_13_2_7_wgs_52_tpt_13_half_op_CI_CI_sbrr_dirReg
	.globl	fft_rtc_fwd_len182_factors_13_2_7_wgs_52_tpt_13_half_op_CI_CI_sbrr_dirReg
	.p2align	8
	.type	fft_rtc_fwd_len182_factors_13_2_7_wgs_52_tpt_13_half_op_CI_CI_sbrr_dirReg,@function
fft_rtc_fwd_len182_factors_13_2_7_wgs_52_tpt_13_half_op_CI_CI_sbrr_dirReg: ; @fft_rtc_fwd_len182_factors_13_2_7_wgs_52_tpt_13_half_op_CI_CI_sbrr_dirReg
; %bb.0:
	s_clause 0x2
	s_load_b128 s[12:15], s[0:1], 0x18
	s_load_b128 s[8:11], s[0:1], 0x0
	;; [unrolled: 1-line block ×3, first 2 shown]
	v_mul_u32_u24_e32 v1, 0x13b2, v0
	v_mov_b32_e32 v3, 0
	v_mov_b32_e32 v7, 0
	;; [unrolled: 1-line block ×3, first 2 shown]
	s_wait_kmcnt 0x0
	s_load_b64 s[18:19], s[12:13], 0x0
	s_load_b64 s[16:17], s[14:15], 0x0
	v_lshrrev_b32_e32 v11, 16, v1
	v_cmp_lt_u64_e64 s2, s[10:11], 2
	v_mov_b32_e32 v10, v3
	s_delay_alu instid0(VALU_DEP_3) | instskip(NEXT) | instid1(VALU_DEP_3)
	v_lshl_add_u32 v9, ttmp9, 2, v11
	s_and_b32 vcc_lo, exec_lo, s2
	s_cbranch_vccnz .LBB0_8
; %bb.1:
	s_load_b64 s[2:3], s[0:1], 0x10
	v_mov_b32_e32 v7, 0
	v_mov_b32_e32 v8, 0
	s_delay_alu instid0(VALU_DEP_2)
	v_mov_b32_e32 v1, v7
	s_add_nc_u64 s[20:21], s[14:15], 8
	s_add_nc_u64 s[22:23], s[12:13], 8
	s_mov_b64 s[24:25], 1
	v_mov_b32_e32 v2, v8
	s_wait_kmcnt 0x0
	s_add_nc_u64 s[26:27], s[2:3], 8
	s_mov_b32 s3, 0
.LBB0_2:                                ; =>This Inner Loop Header: Depth=1
	s_load_b64 s[28:29], s[26:27], 0x0
                                        ; implicit-def: $vgpr5_vgpr6
	s_mov_b32 s2, exec_lo
	s_wait_kmcnt 0x0
	v_or_b32_e32 v4, s29, v10
	s_delay_alu instid0(VALU_DEP_1)
	v_cmpx_ne_u64_e32 0, v[3:4]
	s_wait_alu 0xfffe
	s_xor_b32 s30, exec_lo, s2
	s_cbranch_execz .LBB0_4
; %bb.3:                                ;   in Loop: Header=BB0_2 Depth=1
	s_cvt_f32_u32 s2, s28
	s_cvt_f32_u32 s31, s29
	s_sub_nc_u64 s[36:37], 0, s[28:29]
	s_wait_alu 0xfffe
	s_delay_alu instid0(SALU_CYCLE_1) | instskip(SKIP_1) | instid1(SALU_CYCLE_2)
	s_fmamk_f32 s2, s31, 0x4f800000, s2
	s_wait_alu 0xfffe
	v_s_rcp_f32 s2, s2
	s_delay_alu instid0(TRANS32_DEP_1) | instskip(SKIP_1) | instid1(SALU_CYCLE_2)
	s_mul_f32 s2, s2, 0x5f7ffffc
	s_wait_alu 0xfffe
	s_mul_f32 s31, s2, 0x2f800000
	s_wait_alu 0xfffe
	s_delay_alu instid0(SALU_CYCLE_2) | instskip(SKIP_1) | instid1(SALU_CYCLE_2)
	s_trunc_f32 s31, s31
	s_wait_alu 0xfffe
	s_fmamk_f32 s2, s31, 0xcf800000, s2
	s_cvt_u32_f32 s35, s31
	s_wait_alu 0xfffe
	s_delay_alu instid0(SALU_CYCLE_1) | instskip(SKIP_1) | instid1(SALU_CYCLE_2)
	s_cvt_u32_f32 s34, s2
	s_wait_alu 0xfffe
	s_mul_u64 s[38:39], s[36:37], s[34:35]
	s_wait_alu 0xfffe
	s_mul_hi_u32 s41, s34, s39
	s_mul_i32 s40, s34, s39
	s_mul_hi_u32 s2, s34, s38
	s_mul_i32 s33, s35, s38
	s_wait_alu 0xfffe
	s_add_nc_u64 s[40:41], s[2:3], s[40:41]
	s_mul_hi_u32 s31, s35, s38
	s_mul_hi_u32 s42, s35, s39
	s_add_co_u32 s2, s40, s33
	s_wait_alu 0xfffe
	s_add_co_ci_u32 s2, s41, s31
	s_mul_i32 s38, s35, s39
	s_add_co_ci_u32 s39, s42, 0
	s_wait_alu 0xfffe
	s_add_nc_u64 s[38:39], s[2:3], s[38:39]
	s_wait_alu 0xfffe
	v_add_co_u32 v4, s2, s34, s38
	s_delay_alu instid0(VALU_DEP_1) | instskip(SKIP_1) | instid1(VALU_DEP_1)
	s_cmp_lg_u32 s2, 0
	s_add_co_ci_u32 s35, s35, s39
	v_readfirstlane_b32 s34, v4
	s_wait_alu 0xfffe
	s_delay_alu instid0(VALU_DEP_1)
	s_mul_u64 s[36:37], s[36:37], s[34:35]
	s_wait_alu 0xfffe
	s_mul_hi_u32 s39, s34, s37
	s_mul_i32 s38, s34, s37
	s_mul_hi_u32 s2, s34, s36
	s_mul_i32 s33, s35, s36
	s_wait_alu 0xfffe
	s_add_nc_u64 s[38:39], s[2:3], s[38:39]
	s_mul_hi_u32 s31, s35, s36
	s_mul_hi_u32 s34, s35, s37
	s_wait_alu 0xfffe
	s_add_co_u32 s2, s38, s33
	s_add_co_ci_u32 s2, s39, s31
	s_mul_i32 s36, s35, s37
	s_add_co_ci_u32 s37, s34, 0
	s_wait_alu 0xfffe
	s_add_nc_u64 s[36:37], s[2:3], s[36:37]
	s_wait_alu 0xfffe
	v_add_co_u32 v6, s2, v4, s36
	s_delay_alu instid0(VALU_DEP_1) | instskip(SKIP_1) | instid1(VALU_DEP_1)
	s_cmp_lg_u32 s2, 0
	s_add_co_ci_u32 s2, s35, s37
	v_mul_hi_u32 v16, v9, v6
	s_wait_alu 0xfffe
	v_mad_co_u64_u32 v[4:5], null, v9, s2, 0
	v_mad_co_u64_u32 v[12:13], null, v10, v6, 0
	;; [unrolled: 1-line block ×3, first 2 shown]
	s_delay_alu instid0(VALU_DEP_3) | instskip(SKIP_1) | instid1(VALU_DEP_4)
	v_add_co_u32 v4, vcc_lo, v16, v4
	s_wait_alu 0xfffd
	v_add_co_ci_u32_e32 v5, vcc_lo, 0, v5, vcc_lo
	s_delay_alu instid0(VALU_DEP_2) | instskip(SKIP_1) | instid1(VALU_DEP_2)
	v_add_co_u32 v4, vcc_lo, v4, v12
	s_wait_alu 0xfffd
	v_add_co_ci_u32_e32 v4, vcc_lo, v5, v13, vcc_lo
	s_wait_alu 0xfffd
	v_add_co_ci_u32_e32 v5, vcc_lo, 0, v15, vcc_lo
	s_delay_alu instid0(VALU_DEP_2) | instskip(SKIP_1) | instid1(VALU_DEP_2)
	v_add_co_u32 v12, vcc_lo, v4, v14
	s_wait_alu 0xfffd
	v_add_co_ci_u32_e32 v6, vcc_lo, 0, v5, vcc_lo
	s_delay_alu instid0(VALU_DEP_2) | instskip(SKIP_1) | instid1(VALU_DEP_3)
	v_mul_lo_u32 v13, s29, v12
	v_mad_co_u64_u32 v[4:5], null, s28, v12, 0
	v_mul_lo_u32 v14, s28, v6
	s_delay_alu instid0(VALU_DEP_2) | instskip(NEXT) | instid1(VALU_DEP_2)
	v_sub_co_u32 v4, vcc_lo, v9, v4
	v_add3_u32 v5, v5, v14, v13
	s_delay_alu instid0(VALU_DEP_1) | instskip(SKIP_1) | instid1(VALU_DEP_1)
	v_sub_nc_u32_e32 v13, v10, v5
	s_wait_alu 0xfffd
	v_subrev_co_ci_u32_e64 v13, s2, s29, v13, vcc_lo
	v_add_co_u32 v14, s2, v12, 2
	s_wait_alu 0xf1ff
	v_add_co_ci_u32_e64 v15, s2, 0, v6, s2
	v_sub_co_u32 v16, s2, v4, s28
	v_sub_co_ci_u32_e32 v5, vcc_lo, v10, v5, vcc_lo
	s_wait_alu 0xf1ff
	v_subrev_co_ci_u32_e64 v13, s2, 0, v13, s2
	s_delay_alu instid0(VALU_DEP_3) | instskip(NEXT) | instid1(VALU_DEP_3)
	v_cmp_le_u32_e32 vcc_lo, s28, v16
	v_cmp_eq_u32_e64 s2, s29, v5
	s_wait_alu 0xfffd
	v_cndmask_b32_e64 v16, 0, -1, vcc_lo
	v_cmp_le_u32_e32 vcc_lo, s29, v13
	s_wait_alu 0xfffd
	v_cndmask_b32_e64 v17, 0, -1, vcc_lo
	v_cmp_le_u32_e32 vcc_lo, s28, v4
	;; [unrolled: 3-line block ×3, first 2 shown]
	s_wait_alu 0xfffd
	v_cndmask_b32_e64 v18, 0, -1, vcc_lo
	v_cmp_eq_u32_e32 vcc_lo, s29, v13
	s_wait_alu 0xf1ff
	s_delay_alu instid0(VALU_DEP_2)
	v_cndmask_b32_e64 v4, v18, v4, s2
	s_wait_alu 0xfffd
	v_cndmask_b32_e32 v13, v17, v16, vcc_lo
	v_add_co_u32 v16, vcc_lo, v12, 1
	s_wait_alu 0xfffd
	v_add_co_ci_u32_e32 v17, vcc_lo, 0, v6, vcc_lo
	s_delay_alu instid0(VALU_DEP_3) | instskip(SKIP_1) | instid1(VALU_DEP_2)
	v_cmp_ne_u32_e32 vcc_lo, 0, v13
	s_wait_alu 0xfffd
	v_cndmask_b32_e32 v5, v17, v15, vcc_lo
	v_cndmask_b32_e32 v13, v16, v14, vcc_lo
	v_cmp_ne_u32_e32 vcc_lo, 0, v4
	s_wait_alu 0xfffd
	s_delay_alu instid0(VALU_DEP_3) | instskip(NEXT) | instid1(VALU_DEP_3)
	v_cndmask_b32_e32 v6, v6, v5, vcc_lo
	v_cndmask_b32_e32 v5, v12, v13, vcc_lo
.LBB0_4:                                ;   in Loop: Header=BB0_2 Depth=1
	s_wait_alu 0xfffe
	s_and_not1_saveexec_b32 s2, s30
	s_cbranch_execz .LBB0_6
; %bb.5:                                ;   in Loop: Header=BB0_2 Depth=1
	v_cvt_f32_u32_e32 v4, s28
	s_sub_co_i32 s30, 0, s28
	s_delay_alu instid0(VALU_DEP_1) | instskip(NEXT) | instid1(TRANS32_DEP_1)
	v_rcp_iflag_f32_e32 v4, v4
	v_mul_f32_e32 v4, 0x4f7ffffe, v4
	s_delay_alu instid0(VALU_DEP_1) | instskip(SKIP_1) | instid1(VALU_DEP_1)
	v_cvt_u32_f32_e32 v4, v4
	s_wait_alu 0xfffe
	v_mul_lo_u32 v5, s30, v4
	s_delay_alu instid0(VALU_DEP_1) | instskip(NEXT) | instid1(VALU_DEP_1)
	v_mul_hi_u32 v5, v4, v5
	v_add_nc_u32_e32 v4, v4, v5
	s_delay_alu instid0(VALU_DEP_1) | instskip(NEXT) | instid1(VALU_DEP_1)
	v_mul_hi_u32 v4, v9, v4
	v_mul_lo_u32 v5, v4, s28
	v_add_nc_u32_e32 v6, 1, v4
	s_delay_alu instid0(VALU_DEP_2) | instskip(NEXT) | instid1(VALU_DEP_1)
	v_sub_nc_u32_e32 v5, v9, v5
	v_subrev_nc_u32_e32 v12, s28, v5
	v_cmp_le_u32_e32 vcc_lo, s28, v5
	s_wait_alu 0xfffd
	s_delay_alu instid0(VALU_DEP_2) | instskip(NEXT) | instid1(VALU_DEP_1)
	v_dual_cndmask_b32 v5, v5, v12 :: v_dual_cndmask_b32 v4, v4, v6
	v_cmp_le_u32_e32 vcc_lo, s28, v5
	s_delay_alu instid0(VALU_DEP_2) | instskip(SKIP_1) | instid1(VALU_DEP_1)
	v_add_nc_u32_e32 v6, 1, v4
	s_wait_alu 0xfffd
	v_dual_cndmask_b32 v5, v4, v6 :: v_dual_mov_b32 v6, v3
.LBB0_6:                                ;   in Loop: Header=BB0_2 Depth=1
	s_wait_alu 0xfffe
	s_or_b32 exec_lo, exec_lo, s2
	s_delay_alu instid0(VALU_DEP_1) | instskip(NEXT) | instid1(VALU_DEP_2)
	v_mul_lo_u32 v4, v6, s28
	v_mul_lo_u32 v14, v5, s29
	s_load_b64 s[30:31], s[22:23], 0x0
	v_mad_co_u64_u32 v[12:13], null, v5, s28, 0
	s_load_b64 s[28:29], s[20:21], 0x0
	s_add_nc_u64 s[24:25], s[24:25], 1
	s_add_nc_u64 s[20:21], s[20:21], 8
	s_wait_alu 0xfffe
	v_cmp_ge_u64_e64 s2, s[24:25], s[10:11]
	s_add_nc_u64 s[22:23], s[22:23], 8
	s_add_nc_u64 s[26:27], s[26:27], 8
	v_add3_u32 v4, v13, v14, v4
	v_sub_co_u32 v9, vcc_lo, v9, v12
	s_wait_alu 0xfffd
	s_delay_alu instid0(VALU_DEP_2) | instskip(SKIP_2) | instid1(VALU_DEP_1)
	v_sub_co_ci_u32_e32 v4, vcc_lo, v10, v4, vcc_lo
	s_and_b32 vcc_lo, exec_lo, s2
	s_wait_kmcnt 0x0
	v_mul_lo_u32 v10, s30, v4
	v_mul_lo_u32 v12, s31, v9
	v_mad_co_u64_u32 v[7:8], null, s30, v9, v[7:8]
	v_mul_lo_u32 v4, s28, v4
	v_mul_lo_u32 v13, s29, v9
	v_mad_co_u64_u32 v[1:2], null, s28, v9, v[1:2]
	s_delay_alu instid0(VALU_DEP_4) | instskip(NEXT) | instid1(VALU_DEP_2)
	v_add3_u32 v8, v12, v8, v10
	v_add3_u32 v2, v13, v2, v4
	s_wait_alu 0xfffe
	s_cbranch_vccnz .LBB0_9
; %bb.7:                                ;   in Loop: Header=BB0_2 Depth=1
	v_dual_mov_b32 v10, v6 :: v_dual_mov_b32 v9, v5
	s_branch .LBB0_2
.LBB0_8:
	v_dual_mov_b32 v1, v7 :: v_dual_mov_b32 v2, v8
	s_delay_alu instid0(VALU_DEP_2)
	v_dual_mov_b32 v5, v9 :: v_dual_mov_b32 v6, v10
.LBB0_9:
	s_load_b64 s[0:1], s[0:1], 0x28
	v_mul_hi_u32 v29, 0x13b13b14, v0
	s_lshl_b64 s[10:11], s[10:11], 3
                                        ; implicit-def: $vgpr3
	s_wait_alu 0xfffe
	s_add_nc_u64 s[2:3], s[14:15], s[10:11]
                                        ; implicit-def: $sgpr14
	s_wait_kmcnt 0x0
	v_cmp_gt_u64_e32 vcc_lo, s[0:1], v[5:6]
	v_cmp_le_u64_e64 s0, s[0:1], v[5:6]
	s_delay_alu instid0(VALU_DEP_1)
	s_and_saveexec_b32 s1, s0
	s_wait_alu 0xfffe
	s_xor_b32 s0, exec_lo, s1
; %bb.10:
	v_mul_u32_u24_e32 v3, 13, v29
	s_mov_b32 s14, 0
                                        ; implicit-def: $vgpr29
                                        ; implicit-def: $vgpr7_vgpr8
	s_delay_alu instid0(VALU_DEP_1)
	v_sub_nc_u32_e32 v3, v0, v3
                                        ; implicit-def: $vgpr0
; %bb.11:
	s_wait_alu 0xfffe
	s_or_saveexec_b32 s1, s0
	s_load_b64 s[2:3], s[2:3], 0x0
	v_mov_b32_e32 v4, s14
                                        ; implicit-def: $vgpr9
                                        ; implicit-def: $vgpr10
                                        ; implicit-def: $vgpr12
                                        ; implicit-def: $vgpr13
                                        ; implicit-def: $vgpr14
                                        ; implicit-def: $vgpr20
                                        ; implicit-def: $vgpr19
                                        ; implicit-def: $vgpr18
                                        ; implicit-def: $vgpr17
                                        ; implicit-def: $vgpr16
                                        ; implicit-def: $vgpr22
                                        ; implicit-def: $vgpr21
                                        ; implicit-def: $vgpr23
                                        ; implicit-def: $vgpr24
                                        ; implicit-def: $vgpr25
                                        ; implicit-def: $vgpr26
                                        ; implicit-def: $vgpr30
                                        ; implicit-def: $vgpr31
                                        ; implicit-def: $vgpr33
                                        ; implicit-def: $vgpr34
                                        ; implicit-def: $vgpr35
                                        ; implicit-def: $vgpr36
                                        ; implicit-def: $vgpr27
                                        ; implicit-def: $vgpr28
                                        ; implicit-def: $vgpr15
	s_xor_b32 exec_lo, exec_lo, s1
	s_cbranch_execz .LBB0_15
; %bb.12:
	v_mul_u32_u24_e32 v3, 13, v29
	s_add_nc_u64 s[10:11], s[12:13], s[10:11]
	v_lshlrev_b64_e32 v[7:8], 2, v[7:8]
	s_load_b64 s[10:11], s[10:11], 0x0
	s_delay_alu instid0(VALU_DEP_2) | instskip(NEXT) | instid1(VALU_DEP_1)
	v_sub_nc_u32_e32 v3, v0, v3
	v_mad_co_u64_u32 v[9:10], null, s18, v3, 0
	v_add_nc_u32_e32 v21, 14, v3
	v_or_b32_e32 v31, 0x70, v3
	v_add_nc_u32_e32 v34, 0x8c, v3
	v_add_nc_u32_e32 v38, 0x9a, v3
	v_mov_b32_e32 v0, v10
	v_mad_co_u64_u32 v[12:13], null, s18, v21, 0
	v_add_nc_u32_e32 v25, 42, v3
	s_wait_kmcnt 0x0
	v_mul_lo_u32 v10, s11, v5
	v_mul_lo_u32 v22, s10, v6
	v_mad_co_u64_u32 v[16:17], null, s10, v5, 0
	v_mad_co_u64_u32 v[18:19], null, s19, v3, v[0:1]
	v_mov_b32_e32 v0, v13
	v_mad_co_u64_u32 v[19:20], null, s18, v25, 0
	s_delay_alu instid0(VALU_DEP_4) | instskip(NEXT) | instid1(VALU_DEP_3)
	v_add3_u32 v17, v17, v22, v10
	v_mad_co_u64_u32 v[21:22], null, s19, v21, v[0:1]
	v_add_nc_u32_e32 v24, 28, v3
	v_mov_b32_e32 v10, v18
	s_delay_alu instid0(VALU_DEP_3) | instskip(NEXT) | instid1(VALU_DEP_3)
	v_dual_mov_b32 v0, v20 :: v_dual_mov_b32 v13, v21
	v_mad_co_u64_u32 v[14:15], null, s18, v24, 0
	s_delay_alu instid0(VALU_DEP_2) | instskip(NEXT) | instid1(VALU_DEP_2)
	v_lshlrev_b64_e32 v[12:13], 2, v[12:13]
	v_mov_b32_e32 v4, v15
	v_lshlrev_b64_e32 v[15:16], 2, v[16:17]
	s_delay_alu instid0(VALU_DEP_2) | instskip(NEXT) | instid1(VALU_DEP_2)
	v_mad_co_u64_u32 v[17:18], null, s19, v24, v[4:5]
	v_add_co_u32 v4, s0, s4, v15
	s_wait_alu 0xf1ff
	s_delay_alu instid0(VALU_DEP_3) | instskip(SKIP_1) | instid1(VALU_DEP_3)
	v_add_co_ci_u32_e64 v16, s0, s5, v16, s0
	v_add_nc_u32_e32 v26, 56, v3
	v_add_co_u32 v7, s0, v4, v7
	v_mov_b32_e32 v15, v17
	s_wait_alu 0xf1ff
	v_add_co_ci_u32_e64 v8, s0, v16, v8, s0
	v_mad_co_u64_u32 v[16:17], null, s19, v25, v[0:1]
	v_mad_co_u64_u32 v[22:23], null, s18, v26, 0
	v_add_nc_u32_e32 v4, 0x46, v3
	v_lshlrev_b64_e32 v[14:15], 2, v[14:15]
	s_mov_b32 s4, exec_lo
	s_delay_alu instid0(VALU_DEP_4) | instskip(NEXT) | instid1(VALU_DEP_3)
	v_mov_b32_e32 v20, v16
	v_mad_co_u64_u32 v[16:17], null, s18, v4, 0
	v_mov_b32_e32 v0, v23
	s_delay_alu instid0(VALU_DEP_3) | instskip(NEXT) | instid1(VALU_DEP_2)
	v_lshlrev_b64_e32 v[18:19], 2, v[19:20]
	v_mad_co_u64_u32 v[23:24], null, s19, v26, v[0:1]
	v_add_nc_u32_e32 v26, 0x54, v3
	v_mov_b32_e32 v0, v17
	s_delay_alu instid0(VALU_DEP_2) | instskip(NEXT) | instid1(VALU_DEP_2)
	v_mad_co_u64_u32 v[20:21], null, s18, v26, 0
	v_mad_co_u64_u32 v[24:25], null, s19, v4, v[0:1]
	v_add_nc_u32_e32 v4, 0x62, v3
	v_lshlrev_b64_e32 v[22:23], 2, v[22:23]
	s_delay_alu instid0(VALU_DEP_3) | instskip(NEXT) | instid1(VALU_DEP_3)
	v_dual_mov_b32 v0, v21 :: v_dual_mov_b32 v17, v24
	v_mad_co_u64_u32 v[24:25], null, s18, v4, 0
	s_delay_alu instid0(VALU_DEP_2) | instskip(SKIP_1) | instid1(VALU_DEP_4)
	v_mad_co_u64_u32 v[26:27], null, s19, v26, v[0:1]
	v_mad_co_u64_u32 v[27:28], null, s18, v31, 0
	v_lshlrev_b64_e32 v[16:17], 2, v[16:17]
	s_delay_alu instid0(VALU_DEP_3) | instskip(SKIP_2) | instid1(VALU_DEP_3)
	v_dual_mov_b32 v0, v25 :: v_dual_mov_b32 v21, v26
	v_lshlrev_b64_e32 v[9:10], 2, v[9:10]
	v_add_nc_u32_e32 v26, 0x7e, v3
	v_mad_co_u64_u32 v[29:30], null, s19, v4, v[0:1]
	v_mov_b32_e32 v0, v28
	v_lshlrev_b64_e32 v[20:21], 2, v[20:21]
	v_add_co_u32 v9, s0, v7, v9
	s_wait_alu 0xf1ff
	v_add_co_ci_u32_e64 v10, s0, v8, v10, s0
	v_mov_b32_e32 v25, v29
	v_mad_co_u64_u32 v[28:29], null, s19, v31, v[0:1]
	v_add_co_u32 v12, s0, v7, v12
	v_mad_co_u64_u32 v[29:30], null, s18, v26, 0
	v_mad_co_u64_u32 v[31:32], null, s18, v34, 0
	s_wait_alu 0xf1ff
	v_add_co_ci_u32_e64 v13, s0, v8, v13, s0
	v_add_co_u32 v14, s0, v7, v14
	s_wait_alu 0xf1ff
	v_add_co_ci_u32_e64 v15, s0, v8, v15, s0
	v_add_co_u32 v18, s0, v7, v18
	s_wait_alu 0xf1ff
	v_add_co_ci_u32_e64 v19, s0, v8, v19, s0
	v_mov_b32_e32 v0, v30
	v_add_co_u32 v22, s0, v7, v22
	v_mov_b32_e32 v4, v32
	s_wait_alu 0xf1ff
	v_add_co_ci_u32_e64 v23, s0, v8, v23, s0
	v_add_co_u32 v16, s0, v7, v16
	v_lshlrev_b64_e32 v[24:25], 2, v[24:25]
	v_mad_co_u64_u32 v[32:33], null, s19, v26, v[0:1]
	s_wait_alu 0xf1ff
	v_add_co_ci_u32_e64 v17, s0, v8, v17, s0
	v_mad_co_u64_u32 v[33:34], null, s19, v34, v[4:5]
	v_add_co_u32 v20, s0, v7, v20
	v_mad_co_u64_u32 v[34:35], null, s18, v38, 0
	v_add_nc_u32_e32 v4, 0xa8, v3
	s_wait_alu 0xf1ff
	v_add_co_ci_u32_e64 v21, s0, v8, v21, s0
	v_add_co_u32 v36, s0, v7, v24
	s_wait_alu 0xf1ff
	v_add_co_ci_u32_e64 v37, s0, v8, v25, s0
	v_lshlrev_b64_e32 v[24:25], 2, v[27:28]
	v_mad_co_u64_u32 v[26:27], null, s18, v4, 0
	v_mov_b32_e32 v0, v35
	v_mov_b32_e32 v30, v32
	v_mov_b32_e32 v32, v33
	s_delay_alu instid0(VALU_DEP_3)
	v_mad_co_u64_u32 v[38:39], null, s19, v38, v[0:1]
	v_mov_b32_e32 v0, v27
	v_add_co_u32 v39, s0, v7, v24
	s_wait_alu 0xf1ff
	v_add_co_ci_u32_e64 v40, s0, v8, v25, s0
	v_lshlrev_b64_e32 v[24:25], 2, v[29:30]
	v_mad_co_u64_u32 v[29:30], null, s19, v4, v[0:1]
	v_lshlrev_b64_e32 v[27:28], 2, v[31:32]
	v_dual_mov_b32 v35, v38 :: v_dual_mov_b32 v4, 0
	s_delay_alu instid0(VALU_DEP_4) | instskip(SKIP_2) | instid1(VALU_DEP_4)
	v_add_co_u32 v31, s0, v7, v24
	s_wait_alu 0xf1ff
	v_add_co_ci_u32_e64 v32, s0, v8, v25, s0
	v_add_co_u32 v41, s0, v7, v27
	v_mov_b32_e32 v27, v29
	v_lshlrev_b64_e32 v[24:25], 2, v[34:35]
	s_wait_alu 0xf1ff
	v_add_co_ci_u32_e64 v42, s0, v8, v28, s0
	s_delay_alu instid0(VALU_DEP_3) | instskip(NEXT) | instid1(VALU_DEP_3)
	v_lshlrev_b64_e32 v[43:44], 2, v[26:27]
	v_add_co_u32 v28, s0, v7, v24
	s_wait_alu 0xf1ff
	v_add_co_ci_u32_e64 v29, s0, v8, v25, s0
	s_clause 0x7
	global_load_b32 v35, v[14:15], off
	global_load_b32 v33, v[18:19], off
	;; [unrolled: 1-line block ×8, first 2 shown]
	v_add_co_u32 v9, s0, v7, v43
	s_wait_alu 0xf1ff
	v_add_co_ci_u32_e64 v10, s0, v8, v44, s0
	s_clause 0x4
	global_load_b32 v26, v[39:40], off
	global_load_b32 v31, v[31:32], off
	;; [unrolled: 1-line block ×5, first 2 shown]
                                        ; implicit-def: $vgpr21
                                        ; implicit-def: $vgpr22
                                        ; implicit-def: $vgpr16
                                        ; implicit-def: $vgpr17
                                        ; implicit-def: $vgpr18
                                        ; implicit-def: $vgpr19
                                        ; implicit-def: $vgpr20
                                        ; implicit-def: $vgpr14
                                        ; implicit-def: $vgpr13
                                        ; implicit-def: $vgpr12
                                        ; implicit-def: $vgpr10
                                        ; implicit-def: $vgpr9
	v_cmpx_eq_u32_e32 0, v3
	s_cbranch_execz .LBB0_14
; %bb.13:
	v_mad_co_u64_u32 v[3:4], null, s18, 52, v[7:8]
	v_mad_co_u64_u32 v[9:10], null, 0x6c, s18, v[7:8]
	;; [unrolled: 1-line block ×5, first 2 shown]
	v_mov_b32_e32 v0, v4
	v_mov_b32_e32 v4, v10
	v_mad_co_u64_u32 v[41:42], null, 0x184, s18, v[7:8]
	v_mad_co_u64_u32 v[43:44], null, 0x1bc, s18, v[7:8]
	s_delay_alu instid0(VALU_DEP_4)
	v_mad_co_u64_u32 v[20:21], null, s19, 52, v[0:1]
	v_mov_b32_e32 v0, v13
	v_mad_co_u64_u32 v[13:14], null, 0x6c, s19, v[4:5]
	v_mov_b32_e32 v4, v17
	v_mov_b32_e32 v10, v19
	;; [unrolled: 1-line block ×3, first 2 shown]
	v_mad_co_u64_u32 v[48:49], null, 0x264, s18, v[7:8]
	s_delay_alu instid0(VALU_DEP_4) | instskip(NEXT) | instid1(VALU_DEP_4)
	v_mad_co_u64_u32 v[37:38], null, 0xdc, s19, v[4:5]
	v_mad_co_u64_u32 v[38:39], null, 0x114, s19, v[10:11]
	;; [unrolled: 1-line block ×3, first 2 shown]
	v_mov_b32_e32 v10, v13
	v_mov_b32_e32 v4, v20
	;; [unrolled: 1-line block ×3, first 2 shown]
	s_wait_loadcnt 0x5
	v_mad_co_u64_u32 v[44:45], null, 0x184, s19, v[14:15]
	v_mov_b32_e32 v19, v38
	v_mad_co_u64_u32 v[21:22], null, 0xa4, s19, v[0:1]
	v_dual_mov_b32 v0, v40 :: v_dual_mov_b32 v17, v37
	v_mad_co_u64_u32 v[37:38], null, 0x1f4, s18, v[7:8]
	v_mad_co_u64_u32 v[50:51], null, 0x29c, s18, v[7:8]
	s_delay_alu instid0(VALU_DEP_4) | instskip(NEXT) | instid1(VALU_DEP_4)
	v_mov_b32_e32 v13, v21
	v_mad_co_u64_u32 v[21:22], null, 0x14c, s19, v[0:1]
	v_mov_b32_e32 v42, v44
	v_mov_b32_e32 v0, v38
	s_delay_alu instid0(VALU_DEP_3) | instskip(SKIP_2) | instid1(VALU_DEP_4)
	v_mad_co_u64_u32 v[45:46], null, 0x1bc, s19, v[20:21]
	v_mad_co_u64_u32 v[46:47], null, 0x22c, s18, v[7:8]
	;; [unrolled: 1-line block ×4, first 2 shown]
	v_mov_b32_e32 v0, v49
	v_mov_b32_e32 v40, v21
	;; [unrolled: 1-line block ×5, first 2 shown]
	s_delay_alu instid0(VALU_DEP_3) | instskip(SKIP_2) | instid1(VALU_DEP_2)
	v_mad_co_u64_u32 v[53:54], null, 0x22c, s19, v[14:15]
	v_mov_b32_e32 v14, v51
	v_mad_co_u64_u32 v[54:55], null, 0x264, s19, v[0:1]
	v_mad_co_u64_u32 v[55:56], null, 0x29c, s19, v[14:15]
	;; [unrolled: 1-line block ×3, first 2 shown]
	v_mov_b32_e32 v47, v53
	s_delay_alu instid0(VALU_DEP_4) | instskip(NEXT) | instid1(VALU_DEP_3)
	v_mov_b32_e32 v49, v54
	v_dual_mov_b32 v51, v55 :: v_dual_mov_b32 v8, v56
	s_clause 0xc
	global_load_b32 v4, v[3:4], off
	global_load_b32 v22, v[9:10], off
	global_load_b32 v21, v[12:13], off
	global_load_b32 v20, v[16:17], off
	global_load_b32 v19, v[18:19], off
	global_load_b32 v18, v[39:40], off
	global_load_b32 v17, v[41:42], off
	global_load_b32 v16, v[43:44], off
	global_load_b32 v14, v[37:38], off
	global_load_b32 v13, v[46:47], off
	global_load_b32 v12, v[48:49], off
	global_load_b32 v10, v[50:51], off
	global_load_b32 v9, v[7:8], off
	v_mov_b32_e32 v3, 0
.LBB0_14:
	s_wait_alu 0xfffe
	s_or_b32 exec_lo, exec_lo, s4
.LBB0_15:
	s_delay_alu instid0(SALU_CYCLE_1)
	s_or_b32 exec_lo, exec_lo, s1
	s_wait_loadcnt 0x5
	v_pk_add_f16 v0, v15, v27
	s_wait_loadcnt 0x0
	v_pk_add_f16 v29, v27, v28 neg_lo:[0,1] neg_hi:[0,1]
	v_pk_add_f16 v32, v27, v28
	v_and_b32_e32 v7, 3, v11
	v_lshrrev_b32_e32 v37, 16, v15
	v_pk_add_f16 v0, v0, v35
	v_pk_mul_f16 v27, 0xb770, v29 op_sel_hi:[0,1]
	v_mul_f16_e32 v38, 0x388b, v32
	v_lshrrev_b32_e32 v39, 16, v29
	v_mul_f16_e32 v42, 0x2fb7, v32
	v_pk_add_f16 v0, v0, v33
	v_mul_f16_e32 v44, 0xb5ac, v32
	v_mul_f16_e32 v46, 0xb9fd, v32
	v_pk_fma_f16 v11, 0x3b15, v32, v27 op_sel:[0,0,1] op_sel_hi:[0,1,0] neg_lo:[0,0,1] neg_hi:[0,0,1]
	v_pk_fma_f16 v27, 0x3b15, v32, v27 op_sel:[0,0,1] op_sel_hi:[0,1,0]
	v_pk_add_f16 v0, v0, v30
	v_lshrrev_b32_e32 v40, 16, v32
	v_mul_f16_e32 v41, 0xba95, v29
	v_mul_f16_e32 v43, 0xbbf1, v29
	;; [unrolled: 1-line block ×3, first 2 shown]
	v_pk_add_f16 v47, v0, v25
	v_fmamk_f16 v48, v39, 0x3a95, v38
	v_fmac_f16_e32 v38, 0xba95, v39
	v_fmamk_f16 v50, v39, 0x3bf1, v42
	v_fmac_f16_e32 v42, 0xbbf1, v39
	v_pk_add_f16 v47, v47, v23
	v_fmamk_f16 v52, v39, 0x3b7b, v44
	v_fmac_f16_e32 v44, 0xbb7b, v39
	v_bfi_b32 v54, 0xffff, v11, v27
	v_fmamk_f16 v55, v39, 0x394e, v46
	v_pk_add_f16 v47, v47, v24
	v_mul_f16_e32 v56, 0xb94e, v29
	v_fmac_f16_e32 v46, 0xb94e, v39
	v_fmamk_f16 v49, v40, 0x388b, v41
	v_fma_f16 v41, v40, 0x388b, -v41
	v_pk_add_f16 v47, v47, v26
	v_fmamk_f16 v51, v40, 0x2fb7, v43
	v_fma_f16 v43, v40, 0x2fb7, -v43
	v_fmamk_f16 v53, v40, 0xb5ac, v45
	v_add_f16_e32 v48, v48, v15
	v_pk_add_f16 v47, v47, v31
	v_pk_add_f16 v54, v54, v15
	v_fma_f16 v45, v40, 0xb5ac, -v45
	v_fmamk_f16 v57, v40, 0xb9fd, v56
	v_fma_f16 v40, v40, 0xb9fd, -v56
	v_pk_add_f16 v47, v47, v34
	v_add_f16_e32 v49, v49, v37
	v_add_f16_e32 v41, v41, v37
	;; [unrolled: 1-line block ×4, first 2 shown]
	v_pk_add_f16 v47, v47, v36
	v_add_f16_e32 v53, v53, v37
	v_add_f16_e32 v45, v45, v37
	;; [unrolled: 1-line block ×4, first 2 shown]
	v_pk_add_f16 v28, v47, v28
	v_pk_add_f16 v47, v35, v36 neg_lo:[0,1] neg_hi:[0,1]
	v_pk_add_f16 v35, v35, v36
	v_add_f16_e32 v38, v38, v15
	v_add_f16_e32 v42, v42, v15
	;; [unrolled: 1-line block ×3, first 2 shown]
	v_pk_mul_f16 v36, 0xba95, v47 op_sel_hi:[0,1]
	v_mul_f16_e32 v58, 0xb5ac, v35
	v_lshrrev_b32_e32 v59, 16, v47
	v_lshrrev_b32_e32 v61, 16, v35
	v_mul_f16_e32 v62, 0xbb7b, v47
	v_pk_fma_f16 v39, 0x388b, v35, v36 op_sel:[0,0,1] op_sel_hi:[0,1,0] neg_lo:[0,0,1] neg_hi:[0,0,1]
	v_pk_fma_f16 v36, 0x388b, v35, v36 op_sel:[0,0,1] op_sel_hi:[0,1,0]
	v_fmamk_f16 v60, v59, 0x3b7b, v58
	v_fmac_f16_e32 v58, 0xbb7b, v59
	v_add_f16_e32 v44, v44, v15
	v_add_f16_e32 v50, v50, v15
	v_bfi_b32 v56, 0xffff, v39, v36
	v_add_f16_e32 v48, v60, v48
	v_fma_f16 v60, v61, 0xb5ac, -v62
	v_add_f16_e32 v38, v58, v38
	v_mul_f16_e32 v58, 0xb9fd, v35
	v_pk_add_f16 v40, v56, v54
	v_mul_f16_e32 v54, 0xbbc4, v35
	v_fmamk_f16 v56, v61, 0xb5ac, v62
	v_mul_f16_e32 v62, 0xb3a8, v47
	v_add_f16_e32 v41, v60, v41
	v_mul_f16_e32 v60, 0x394e, v47
	v_fmamk_f16 v63, v59, 0x33a8, v54
	v_add_f16_e32 v49, v56, v49
	v_fmamk_f16 v56, v61, 0xbbc4, v62
	v_fmac_f16_e32 v54, 0xb3a8, v59
	v_add_f16_e32 v55, v55, v15
	v_add_f16_e32 v46, v46, v15
	;; [unrolled: 1-line block ×4, first 2 shown]
	v_fma_f16 v56, v61, 0xbbc4, -v62
	v_add_f16_e32 v42, v54, v42
	v_fmamk_f16 v54, v61, 0xb9fd, v60
	v_fmamk_f16 v62, v59, 0xb94e, v58
	v_fmac_f16_e32 v58, 0x394e, v59
	v_add_f16_e32 v43, v56, v43
	v_mul_f16_e32 v56, 0x2fb7, v35
	v_add_f16_e32 v53, v54, v53
	v_pk_add_f16 v54, v33, v34 neg_lo:[0,1] neg_hi:[0,1]
	v_add_f16_e32 v52, v62, v52
	v_add_f16_e32 v44, v58, v44
	v_fma_f16 v58, v61, 0xb9fd, -v60
	v_fmamk_f16 v60, v59, 0xbbf1, v56
	v_mul_f16_e32 v62, 0x3bf1, v47
	v_pk_add_f16 v33, v33, v34
	v_pk_mul_f16 v34, 0xbbf1, v54 op_sel_hi:[0,1]
	v_add_f16_e32 v45, v58, v45
	v_add_f16_e32 v55, v60, v55
	v_fmamk_f16 v58, v61, 0x2fb7, v62
	v_fmac_f16_e32 v56, 0x3bf1, v59
	v_pk_fma_f16 v59, 0x2fb7, v33, v34 op_sel:[0,0,1] op_sel_hi:[0,1,0] neg_lo:[0,0,1] neg_hi:[0,0,1]
	v_pk_fma_f16 v34, 0x2fb7, v33, v34 op_sel:[0,0,1] op_sel_hi:[0,1,0]
	v_mul_f16_e32 v60, 0xbbc4, v33
	v_lshrrev_b32_e32 v63, 16, v54
	v_add_f16_e32 v57, v58, v57
	v_add_f16_e32 v46, v56, v46
	v_fma_f16 v56, v61, 0x2fb7, -v62
	v_bfi_b32 v58, 0xffff, v59, v34
	v_fmamk_f16 v61, v63, 0x33a8, v60
	v_lshrrev_b32_e32 v62, 16, v33
	v_mul_f16_e32 v64, 0xb3a8, v54
	v_add_f16_e32 v37, v56, v37
	v_pk_add_f16 v40, v58, v40
	v_add_f16_e32 v48, v61, v48
	v_mul_f16_e32 v56, 0xb5ac, v33
	v_fmamk_f16 v58, v62, 0xbbc4, v64
	v_fma_f16 v61, v62, 0xbbc4, -v64
	v_mul_f16_e32 v64, 0x3b7b, v54
	v_fmac_f16_e32 v60, 0xb3a8, v63
	v_fmamk_f16 v65, v63, 0xbb7b, v56
	v_add_f16_e32 v49, v58, v49
	v_add_f16_e32 v41, v61, v41
	v_fmamk_f16 v58, v62, 0xb5ac, v64
	v_fmac_f16_e32 v56, 0x3b7b, v63
	v_mul_f16_e32 v61, 0x3770, v54
	v_add_f16_e32 v38, v60, v38
	v_mul_f16_e32 v60, 0x3b15, v33
	v_add_f16_e32 v51, v58, v51
	v_fma_f16 v58, v62, 0xb5ac, -v64
	v_add_f16_e32 v42, v56, v42
	v_fmamk_f16 v56, v62, 0x3b15, v61
	v_fmamk_f16 v64, v63, 0xb770, v60
	v_fmac_f16_e32 v60, 0x3770, v63
	v_add_f16_e32 v43, v58, v43
	v_mul_f16_e32 v58, 0x388b, v33
	v_add_f16_e32 v53, v56, v53
	v_pk_add_f16 v56, v30, v31 neg_lo:[0,1] neg_hi:[0,1]
	v_add_f16_e32 v52, v64, v52
	v_add_f16_e32 v44, v60, v44
	v_fma_f16 v60, v62, 0x3b15, -v61
	v_fmamk_f16 v61, v63, 0x3a95, v58
	v_mul_f16_e32 v64, 0xba95, v54
	v_pk_add_f16 v30, v30, v31
	v_pk_mul_f16 v31, 0xbb7b, v56 op_sel_hi:[0,1]
	v_add_f16_e32 v50, v65, v50
	v_add_f16_e32 v45, v60, v45
	v_add_f16_e32 v55, v61, v55
	v_fmamk_f16 v60, v62, 0x388b, v64
	v_fmac_f16_e32 v58, 0xba95, v63
	v_pk_fma_f16 v61, 0xb5ac, v30, v31 op_sel:[0,0,1] op_sel_hi:[0,1,0] neg_lo:[0,0,1] neg_hi:[0,0,1]
	v_pk_fma_f16 v31, 0xb5ac, v30, v31 op_sel:[0,0,1] op_sel_hi:[0,1,0]
	v_mul_f16_e32 v63, 0xb9fd, v30
	v_lshrrev_b32_e32 v65, 16, v56
	v_add_f16_e32 v57, v60, v57
	v_add_f16_e32 v46, v58, v46
	v_fma_f16 v58, v62, 0x388b, -v64
	v_bfi_b32 v60, 0xffff, v61, v31
	v_fmamk_f16 v62, v65, 0xb94e, v63
	v_lshrrev_b32_e32 v64, 16, v30
	v_mul_f16_e32 v66, 0x394e, v56
	v_add_f16_e32 v37, v58, v37
	v_pk_add_f16 v40, v60, v40
	v_add_f16_e32 v48, v62, v48
	v_mul_f16_e32 v58, 0x3b15, v30
	v_fmamk_f16 v60, v64, 0xb9fd, v66
	v_fmac_f16_e32 v63, 0x394e, v65
	v_fma_f16 v62, v64, 0xb9fd, -v66
	v_mul_f16_e32 v66, 0x3770, v56
	v_fmamk_f16 v67, v65, 0xb770, v58
	v_add_f16_e32 v49, v60, v49
	v_add_f16_e32 v38, v63, v38
	v_fmac_f16_e32 v58, 0x3770, v65
	v_fmamk_f16 v60, v64, 0x3b15, v66
	v_mul_f16_e32 v63, 0xbbf1, v56
	v_add_f16_e32 v41, v62, v41
	v_mul_f16_e32 v62, 0x2fb7, v30
	v_add_f16_e32 v42, v58, v42
	v_add_f16_e32 v51, v60, v51
	v_fma_f16 v60, v64, 0x3b15, -v66
	v_fmamk_f16 v58, v64, 0x2fb7, v63
	v_fmamk_f16 v66, v65, 0x3bf1, v62
	v_fmac_f16_e32 v62, 0xbbf1, v65
	v_add_f16_e32 v50, v67, v50
	v_add_f16_e32 v43, v60, v43
	v_mul_f16_e32 v60, 0xbbc4, v30
	v_add_f16_e32 v53, v58, v53
	v_pk_add_f16 v58, v25, v26 neg_lo:[0,1] neg_hi:[0,1]
	v_add_f16_e32 v52, v66, v52
	v_add_f16_e32 v44, v62, v44
	v_fma_f16 v62, v64, 0x2fb7, -v63
	v_fmamk_f16 v63, v65, 0xb3a8, v60
	v_mul_f16_e32 v66, 0x33a8, v56
	v_pk_add_f16 v25, v25, v26
	v_pk_mul_f16 v26, 0xb94e, v58 op_sel_hi:[0,1]
	v_add_f16_e32 v45, v62, v45
	v_add_f16_e32 v55, v63, v55
	v_fmamk_f16 v62, v64, 0xbbc4, v66
	v_fmac_f16_e32 v60, 0x33a8, v65
	v_pk_fma_f16 v63, 0xb9fd, v25, v26 op_sel:[0,0,1] op_sel_hi:[0,1,0] neg_lo:[0,0,1] neg_hi:[0,0,1]
	v_pk_fma_f16 v26, 0xb9fd, v25, v26 op_sel:[0,0,1] op_sel_hi:[0,1,0]
	v_mul_f16_e32 v65, 0x2fb7, v25
	v_lshrrev_b32_e32 v67, 16, v58
	v_add_f16_e32 v57, v62, v57
	v_add_f16_e32 v46, v60, v46
	v_fma_f16 v60, v64, 0xbbc4, -v66
	v_bfi_b32 v62, 0xffff, v63, v26
	v_fmamk_f16 v64, v67, 0xbbf1, v65
	v_lshrrev_b32_e32 v66, 16, v25
	v_mul_f16_e32 v68, 0x3bf1, v58
	v_mul_f16_e32 v69, 0xba95, v58
	v_pk_add_f16 v40, v62, v40
	v_add_f16_e32 v48, v64, v48
	v_add_f16_e32 v37, v60, v37
	v_fmamk_f16 v62, v66, 0x2fb7, v68
	v_fma_f16 v64, v66, 0x2fb7, -v68
	v_mul_f16_e32 v60, 0x388b, v25
	v_fmac_f16_e32 v65, 0x3bf1, v67
	v_pk_mul_f16 v32, 0xbbc4, v32 op_sel_hi:[0,1]
	v_add_f16_e32 v49, v62, v49
	v_add_f16_e32 v41, v64, v41
	v_fmamk_f16 v62, v66, 0x388b, v69
	v_mul_f16_e32 v64, 0xbbc4, v25
	v_fmamk_f16 v68, v67, 0x3a95, v60
	v_add_f16_e32 v38, v65, v38
	v_mul_f16_e32 v65, 0x33a8, v58
	v_add_f16_e32 v51, v62, v51
	v_fmamk_f16 v62, v67, 0xb3a8, v64
	v_fmac_f16_e32 v64, 0x33a8, v67
	v_fmac_f16_e32 v60, 0xba95, v67
	v_add_f16_e32 v50, v68, v50
	v_fma_f16 v68, v66, 0x388b, -v69
	v_fmamk_f16 v69, v66, 0xbbc4, v65
	v_add_f16_e32 v44, v64, v44
	v_pk_add_f16 v64, v23, v24 neg_lo:[0,1] neg_hi:[0,1]
	v_add_f16_e32 v42, v60, v42
	v_add_f16_e32 v52, v62, v52
	v_mul_f16_e32 v60, 0x3b15, v25
	v_mul_f16_e32 v62, 0x3770, v58
	v_fma_f16 v65, v66, 0xbbc4, -v65
	v_pk_add_f16 v23, v23, v24
	v_pk_mul_f16 v24, 0xb3a8, v64 op_sel_hi:[0,1]
	v_add_f16_e32 v43, v68, v43
	v_add_f16_e32 v53, v69, v53
	v_fmamk_f16 v68, v67, 0xb770, v60
	v_fmamk_f16 v69, v66, 0x3b15, v62
	v_add_f16_e32 v45, v65, v45
	v_fmac_f16_e32 v60, 0x3770, v67
	v_pk_fma_f16 v65, 0xbbc4, v23, v24 op_sel:[0,0,1] op_sel_hi:[0,1,0] neg_lo:[0,0,1] neg_hi:[0,0,1]
	v_pk_fma_f16 v24, 0xbbc4, v23, v24 op_sel:[0,0,1] op_sel_hi:[0,1,0]
	v_add_f16_e32 v55, v68, v55
	v_add_f16_e32 v57, v69, v57
	;; [unrolled: 1-line block ×3, first 2 shown]
	v_mul_f16_e32 v60, 0x3b15, v23
	v_lshrrev_b32_e32 v67, 16, v64
	v_fma_f16 v62, v66, 0x3b15, -v62
	v_bfi_b32 v66, 0xffff, v65, v24
	v_lshrrev_b32_e32 v68, 16, v23
	v_mul_f16_e32 v69, 0x3770, v64
	v_fmamk_f16 v70, v67, 0xb770, v60
	v_add_f16_e32 v37, v62, v37
	v_pk_add_f16 v40, v66, v40
	v_mul_f16_e32 v62, 0xb9fd, v23
	v_fmamk_f16 v66, v68, 0x3b15, v69
	v_add_f16_e32 v48, v70, v48
	v_fmac_f16_e32 v60, 0x3770, v67
	v_fma_f16 v69, v68, 0x3b15, -v69
	v_fmamk_f16 v70, v67, 0x394e, v62
	v_add_f16_e32 v49, v66, v49
	v_mul_f16_e32 v66, 0xb94e, v64
	v_add_f16_e32 v38, v60, v38
	v_add_f16_e32 v41, v69, v41
	;; [unrolled: 1-line block ×3, first 2 shown]
	v_mul_f16_e32 v60, 0x388b, v23
	v_fmamk_f16 v69, v68, 0xb9fd, v66
	v_fmac_f16_e32 v62, 0xb94e, v67
	v_mul_f16_e32 v70, 0x3a95, v64
	v_fma_f16 v66, v68, 0xb9fd, -v66
	v_fmamk_f16 v71, v67, 0xba95, v60
	v_add_f16_e32 v51, v69, v51
	v_add_f16_e32 v42, v62, v42
	v_fmamk_f16 v62, v68, 0x388b, v70
	v_fmac_f16_e32 v60, 0x3a95, v67
	v_mul_f16_e32 v69, 0xb5ac, v23
	v_add_f16_e32 v43, v66, v43
	v_fma_f16 v66, v68, 0x388b, -v70
	v_add_f16_e32 v53, v62, v53
	v_mul_f16_e32 v62, 0xbb7b, v64
	v_add_f16_e32 v44, v60, v44
	v_fmamk_f16 v60, v67, 0x3b7b, v69
	v_add_f16_e32 v45, v66, v45
	v_pk_mul_f16 v35, 0x3b15, v35 op_sel_hi:[0,1]
	v_fmamk_f16 v66, v68, 0xb5ac, v62
	v_fma_f16 v62, v68, 0xb5ac, -v62
	v_add_f16_e32 v55, v60, v55
	v_pk_fma_f16 v60, 0xb3a8, v29, v32 op_sel:[0,0,1] op_sel_hi:[0,1,0] neg_lo:[0,1,0] neg_hi:[0,1,0]
	v_add_f16_e32 v52, v71, v52
	v_pk_fma_f16 v29, 0xb3a8, v29, v32 op_sel:[0,0,1] op_sel_hi:[0,1,0]
	v_add_f16_e32 v37, v62, v37
	v_pk_fma_f16 v32, 0x3770, v47, v35 op_sel:[0,0,1] op_sel_hi:[0,1,0] neg_lo:[0,1,0] neg_hi:[0,1,0]
	v_alignbit_b32 v62, s0, v60, 16
	v_pk_mul_f16 v33, 0xb9fd, v33 op_sel_hi:[0,1]
	v_pack_b32_f16 v48, v48, v49
	v_pack_b32_f16 v49, v52, v53
	v_alignbit_b32 v53, s0, v15, 16
	v_pk_add_f16 v52, v62, v15
	v_pk_add_f16 v29, v29, v15 op_sel:[0,1] op_sel_hi:[1,0]
	v_alignbit_b32 v62, s0, v32, 16
	v_pk_fma_f16 v35, 0x3770, v47, v35 op_sel:[0,0,1] op_sel_hi:[0,1,0]
	v_pk_fma_f16 v47, 0xb94e, v54, v33 op_sel:[0,0,1] op_sel_hi:[0,1,0] neg_lo:[0,1,0] neg_hi:[0,1,0]
	v_pk_mul_f16 v30, 0x388b, v30 op_sel_hi:[0,1]
	v_pk_add_f16 v53, v60, v53
	v_pk_add_f16 v52, v62, v52
	;; [unrolled: 1-line block ×3, first 2 shown]
	v_alignbit_b32 v35, s0, v47, 16
	v_pk_fma_f16 v33, 0xb94e, v54, v33 op_sel:[0,0,1] op_sel_hi:[0,1,0]
	v_pk_fma_f16 v54, 0x3a95, v56, v30 op_sel:[0,0,1] op_sel_hi:[0,1,0] neg_lo:[0,1,0] neg_hi:[0,1,0]
	v_pk_mul_f16 v25, 0xb5ac, v25 op_sel_hi:[0,1]
	v_bfi_b32 v11, 0xffff, v27, v11
	v_pk_add_f16 v32, v32, v53
	v_pk_add_f16 v35, v35, v52
	;; [unrolled: 1-line block ×3, first 2 shown]
	v_alignbit_b32 v33, s0, v54, 16
	v_pk_fma_f16 v30, 0x3a95, v56, v30 op_sel:[0,0,1] op_sel_hi:[0,1,0]
	v_pk_fma_f16 v52, 0xbb7b, v58, v25 op_sel:[0,0,1] op_sel_hi:[0,1,0] neg_lo:[0,1,0] neg_hi:[0,1,0]
	v_pk_add_f16 v11, v11, v15
	v_bfi_b32 v15, 0xffff, v36, v39
	v_pk_add_f16 v32, v47, v32
	v_pk_add_f16 v27, v33, v35
	;; [unrolled: 1-line block ×3, first 2 shown]
	v_alignbit_b32 v30, s0, v52, 16
	v_pk_mul_f16 v23, 0x2fb7, v23 op_sel_hi:[0,1]
	v_pk_add_f16 v11, v15, v11
	v_bfi_b32 v15, 0xffff, v34, v59
	v_pk_add_f16 v32, v54, v32
	v_pk_fma_f16 v25, 0xbb7b, v58, v25 op_sel:[0,0,1] op_sel_hi:[0,1,0]
	v_pk_add_f16 v27, v30, v27
	v_pk_fma_f16 v30, 0x3bf1, v64, v23 op_sel:[0,0,1] op_sel_hi:[0,1,0] neg_lo:[0,1,0] neg_hi:[0,1,0]
	v_mul_u32_u24_e32 v7, 0xb6, v7
	v_pk_add_f16 v11, v15, v11
	v_bfi_b32 v15, 0xffff, v31, v61
	v_pk_add_f16 v25, v25, v29
	v_pk_add_f16 v29, v52, v32
	v_alignbit_b32 v32, s0, v30, 16
	v_pk_fma_f16 v23, 0x3bf1, v64, v23 op_sel:[0,0,1] op_sel_hi:[0,1,0]
	v_fmac_f16_e32 v69, 0xbb7b, v67
	v_mul_u32_u24_e32 v8, 52, v3
	v_lshlrev_b32_e32 v0, 2, v7
	v_add_f16_e32 v57, v66, v57
	v_pk_add_f16 v11, v15, v11
	v_bfi_b32 v15, 0xffff, v26, v63
	v_pk_add_f16 v27, v32, v27
	v_pk_add_f16 v23, v23, v25
	v_pk_add_f16 v25, v30, v29
	v_add_f16_e32 v46, v69, v46
	v_add3_u32 v8, 0, v8, v0
	v_pack_b32_f16 v31, v55, v57
	v_pk_add_f16 v11, v15, v11
	v_bfi_b32 v15, 0xffff, v24, v65
	v_pack_b32_f16 v26, v50, v51
	v_alignbit_b32 v25, v25, v23, 16
	v_pack_b32_f16 v23, v27, v23
	v_pack_b32_f16 v24, v44, v45
	;; [unrolled: 1-line block ×3, first 2 shown]
	s_mov_b32 s1, exec_lo
	ds_store_2addr_b32 v8, v28, v31 offset1:5
	v_pack_b32_f16 v28, v38, v41
	v_pack_b32_f16 v29, v42, v43
	v_pk_add_f16 v11, v15, v11
	ds_store_2addr_b32 v8, v40, v48 offset0:1 offset1:2
	ds_store_2addr_b32 v8, v26, v49 offset0:3 offset1:4
	;; [unrolled: 1-line block ×5, first 2 shown]
	ds_store_b32 v8, v11 offset:48
	v_cmpx_eq_u32_e32 0, v3
	s_cbranch_execz .LBB0_17
; %bb.16:
	v_pk_add_f16 v8, v4, v22
	v_pk_add_f16 v23, v22, v9 neg_lo:[0,1] neg_hi:[0,1]
	v_pk_add_f16 v28, v22, v9
	v_pk_add_f16 v22, v21, v10 neg_lo:[0,1] neg_hi:[0,1]
	v_pk_add_f16 v27, v21, v10
	v_pk_add_f16 v8, v8, v21
	v_pk_add_f16 v15, v19, v13 neg_lo:[0,1] neg_hi:[0,1]
	v_pk_add_f16 v24, v19, v13
	v_mul_f16_e32 v33, 0xb94e, v23
	v_pk_add_f16 v21, v20, v12 neg_lo:[0,1] neg_hi:[0,1]
	v_pk_add_f16 v29, v8, v20
	v_pk_add_f16 v26, v20, v12
	v_lshrrev_b32_e32 v31, 16, v4
	v_mul_f16_e32 v34, 0x3bf1, v22
	v_lshrrev_b32_e32 v30, 16, v27
	v_pk_add_f16 v29, v29, v19
	v_lshrrev_b32_e32 v19, 16, v28
	v_pk_add_f16 v11, v18, v14 neg_lo:[0,1] neg_hi:[0,1]
	v_pk_add_f16 v25, v18, v14
	v_pk_add_f16 v8, v17, v16 neg_lo:[0,1] neg_hi:[0,1]
	v_pk_add_f16 v29, v29, v18
	v_fmamk_f16 v37, v19, 0xb9fd, v33
	v_pk_add_f16 v20, v17, v16
	v_mul_f16_e32 v35, 0xba95, v21
	v_lshrrev_b32_e32 v18, 16, v26
	v_pk_add_f16 v29, v29, v17
	v_mul_f16_e32 v17, 0xb9fd, v28
	v_lshrrev_b32_e32 v38, 16, v23
	v_fmamk_f16 v39, v30, 0x2fb7, v34
	v_add_f16_e32 v37, v31, v37
	v_pk_add_f16 v29, v29, v16
	v_mul_f16_e32 v36, 0x33a8, v15
	v_lshrrev_b32_e32 v32, 16, v24
	v_mul_f16_e32 v16, 0x2fb7, v27
	v_lshrrev_b32_e32 v40, 16, v22
	v_pk_add_f16 v29, v14, v29
	v_fmamk_f16 v41, v18, 0x388b, v35
	v_add_f16_e32 v37, v37, v39
	v_fmamk_f16 v39, v38, 0x394e, v17
	v_mul_f16_e32 v14, 0x388b, v26
	v_pk_add_f16 v13, v13, v29
	v_fmamk_f16 v29, v32, 0xbbc4, v36
	v_add_f16_e32 v37, v37, v41
	v_fmamk_f16 v41, v40, 0xbbf1, v16
	v_add_f16_e32 v39, v4, v39
	v_lshrrev_b32_e32 v43, 16, v21
	v_pk_add_f16 v42, v12, v13
	v_add_f16_e32 v29, v37, v29
	v_mul_f16_e32 v37, 0x3770, v11
	v_lshrrev_b32_e32 v44, 16, v25
	v_add_f16_e32 v13, v39, v41
	v_fmamk_f16 v39, v43, 0x3a95, v14
	v_mul_f16_e32 v12, 0xbbc4, v24
	v_lshrrev_b32_e32 v41, 16, v15
	v_fmamk_f16 v45, v44, 0x3b15, v37
	v_mul_f16_e32 v46, 0xbb7b, v8
	v_lshrrev_b32_e32 v47, 16, v20
	v_add_f16_e32 v39, v13, v39
	v_fmamk_f16 v48, v41, 0xb3a8, v12
	v_mul_f16_e32 v13, 0x3b15, v25
	v_lshrrev_b32_e32 v49, 16, v11
	v_pk_add_f16 v10, v10, v42
	v_add_f16_e32 v29, v29, v45
	v_fmamk_f16 v42, v47, 0xb5ac, v46
	v_add_f16_e32 v39, v39, v48
	v_fmamk_f16 v45, v49, 0xb770, v13
	v_mul_f16_e32 v48, 0xbb7b, v23
	v_mul_f16_e32 v53, 0x3770, v21
	v_add_f16_e32 v42, v29, v42
	v_mul_f16_e32 v57, 0xbbf1, v15
	v_add_f16_e32 v29, v39, v45
	v_fmamk_f16 v39, v19, 0xb5ac, v48
	v_mul_f16_e32 v45, 0x394e, v22
	v_mul_f16_e32 v60, 0x33a8, v11
	v_pk_add_f16 v9, v9, v10
	v_mul_f16_e32 v10, 0xb5ac, v20
	v_add_f16_e32 v39, v31, v39
	v_fmamk_f16 v52, v30, 0xb9fd, v45
	v_lshrrev_b32_e32 v50, 16, v8
	v_mul_f16_e32 v62, 0x3a95, v8
	v_mul_f16_e32 v51, 0xb5ac, v28
	;; [unrolled: 1-line block ×3, first 2 shown]
	v_add_f16_e32 v39, v39, v52
	v_fmamk_f16 v52, v18, 0x3b15, v53
	v_fmamk_f16 v54, v50, 0x3b7b, v10
	;; [unrolled: 1-line block ×3, first 2 shown]
	v_mul_f16_e32 v56, 0xb9fd, v27
	v_mul_f16_e32 v59, 0x3b15, v26
	v_add_f16_e32 v39, v39, v52
	v_fmamk_f16 v52, v32, 0x2fb7, v57
	v_add_f16_e32 v54, v29, v54
	v_add_f16_e32 v55, v4, v55
	v_fmamk_f16 v58, v40, 0xb94e, v56
	v_mul_f16_e32 v65, 0x2fb7, v28
	v_add_f16_e32 v39, v39, v52
	v_fmamk_f16 v52, v44, 0xbbc4, v60
	v_mul_f16_e32 v67, 0x3b7b, v21
	;; [unrolled: 3-line block ×3, first 2 shown]
	v_add_f16_e32 v39, v39, v52
	v_fmamk_f16 v52, v47, 0x388b, v62
	v_fmamk_f16 v69, v38, 0x3bf1, v65
	v_mul_f16_e32 v70, 0xbbc4, v27
	v_mul_f16_e32 v71, 0x3770, v15
	v_add_f16_e32 v55, v55, v58
	v_add_f16_e32 v29, v39, v52
	v_fmamk_f16 v39, v19, 0x2fb7, v64
	v_mul_f16_e32 v52, 0xb3a8, v22
	v_fmamk_f16 v58, v41, 0x3bf1, v61
	v_mul_f16_e32 v63, 0xbbc4, v25
	v_add_f16_e32 v69, v4, v69
	v_add_f16_e32 v39, v31, v39
	v_fmamk_f16 v66, v30, 0xbbc4, v52
	v_fmamk_f16 v72, v40, 0x33a8, v70
	v_mul_f16_e32 v73, 0xb5ac, v26
	v_mul_f16_e32 v74, 0xba95, v11
	v_add_f16_e32 v55, v55, v58
	v_add_f16_e32 v39, v39, v66
	v_fmamk_f16 v66, v18, 0xb5ac, v67
	v_fmamk_f16 v58, v49, 0xb3a8, v63
	v_add_f16_e32 v69, v69, v72
	v_fmamk_f16 v72, v43, 0xbb7b, v73
	v_mul_f16_e32 v75, 0x3b15, v24
	v_add_f16_e32 v39, v39, v66
	v_fmamk_f16 v66, v32, 0x3b15, v71
	v_mul_f16_e32 v76, 0xb94e, v8
	v_add_f16_e32 v55, v55, v58
	v_mul_f16_e32 v58, 0x388b, v20
	v_add_f16_e32 v69, v69, v72
	v_add_f16_e32 v39, v39, v66
	v_fmamk_f16 v66, v44, 0x388b, v74
	v_fmamk_f16 v72, v41, 0xb770, v75
	v_mul_f16_e32 v77, 0x388b, v25
	v_mul_f16_e32 v78, 0xba95, v23
	v_fma_f16 v33, v19, 0xb9fd, -v33
	v_add_f16_e32 v39, v39, v66
	v_fmamk_f16 v66, v47, 0xb9fd, v76
	v_fmamk_f16 v68, v50, 0xba95, v58
	v_add_f16_e32 v69, v69, v72
	v_fmamk_f16 v72, v49, 0x3a95, v77
	v_fmamk_f16 v79, v19, 0x388b, v78
	v_mul_f16_e32 v80, 0xbb7b, v22
	v_add_f16_e32 v39, v39, v66
	v_mul_f16_e32 v66, 0x388b, v28
	v_add_f16_e32 v33, v31, v33
	v_fma_f16 v34, v30, 0x2fb7, -v34
	v_add_f16_e32 v55, v55, v68
	v_add_f16_e32 v68, v31, v79
	v_fmamk_f16 v79, v30, 0xb5ac, v80
	v_mul_f16_e32 v81, 0xb3a8, v21
	v_add_f16_e32 v69, v69, v72
	v_fmamk_f16 v72, v38, 0x3a95, v66
	v_mul_f16_e32 v82, 0xb5ac, v27
	v_add_f16_e32 v33, v33, v34
	v_fma_f16 v34, v18, 0x388b, -v35
	v_fma_f16 v48, v19, 0xb5ac, -v48
	v_add_f16_e32 v68, v68, v79
	v_fmamk_f16 v79, v18, 0xbbc4, v81
	v_mul_f16_e32 v83, 0x394e, v15
	v_add_f16_e32 v72, v4, v72
	v_fmamk_f16 v84, v40, 0x3b7b, v82
	v_mul_f16_e32 v85, 0xbbc4, v26
	v_mul_f16_e32 v86, 0xb9fd, v20
	v_add_f16_e32 v33, v33, v34
	v_fma_f16 v34, v32, 0xbbc4, -v36
	v_add_f16_e32 v36, v31, v48
	v_fma_f16 v45, v30, 0xb9fd, -v45
	v_add_f16_e32 v68, v68, v79
	v_fmamk_f16 v79, v32, 0xb9fd, v83
	v_add_f16_e32 v72, v72, v84
	v_fmamk_f16 v84, v43, 0x33a8, v85
	v_mul_f16_e32 v87, 0xb9fd, v24
	v_fmamk_f16 v88, v50, 0x394e, v86
	v_mul_f16_e32 v89, 0x3bf1, v11
	v_add_f16_e32 v33, v33, v34
	v_fma_f16 v34, v44, 0x3b15, -v37
	v_add_f16_e32 v36, v36, v45
	v_fma_f16 v37, v18, 0x3b15, -v53
	v_add_f16_e32 v68, v68, v79
	v_add_f16_e32 v72, v72, v84
	v_fmamk_f16 v79, v41, 0xb94e, v87
	v_mul_f16_e32 v84, 0x2fb7, v25
	v_fmamk_f16 v90, v44, 0x2fb7, v89
	v_add_f16_e32 v69, v69, v88
	v_pk_mul_f16 v88, 0xb770, v23 op_sel_hi:[0,1]
	v_add_f16_e32 v33, v33, v34
	v_add_f16_e32 v34, v36, v37
	v_fma_f16 v36, v32, 0x2fb7, -v57
	v_mul_f16_e32 v91, 0x3770, v8
	v_add_f16_e32 v72, v72, v79
	v_fmamk_f16 v79, v49, 0xbbf1, v84
	v_add_f16_e32 v68, v68, v90
	v_pk_fma_f16 v90, 0x3b15, v28, v88 op_sel:[0,0,1] op_sel_hi:[0,1,0] neg_lo:[0,0,1] neg_hi:[0,0,1]
	v_pk_mul_f16 v92, 0xba95, v22 op_sel_hi:[0,1]
	v_pk_fma_f16 v88, 0x3b15, v28, v88 op_sel:[0,0,1] op_sel_hi:[0,1,0]
	v_fma_f16 v46, v47, 0xb5ac, -v46
	v_add_f16_e32 v34, v34, v36
	v_fma_f16 v36, v44, 0xbbc4, -v60
	v_fmamk_f16 v93, v47, 0x3b15, v91
	v_add_f16_e32 v72, v72, v79
	v_mul_f16_e32 v79, 0x3b15, v20
	v_pk_fma_f16 v94, 0x388b, v27, v92 op_sel:[0,0,1] op_sel_hi:[0,1,0] neg_lo:[0,0,1] neg_hi:[0,0,1]
	v_bfi_b32 v95, 0xffff, v90, v88
	v_pk_fma_f16 v92, 0x388b, v27, v92 op_sel:[0,0,1] op_sel_hi:[0,1,0]
	v_pk_mul_f16 v96, 0xbbf1, v21 op_sel_hi:[0,1]
	v_fmac_f16_e32 v51, 0xbb7b, v38
	v_add_f16_e32 v33, v33, v46
	v_add_f16_e32 v34, v34, v36
	v_fma_f16 v46, v47, 0x388b, -v62
	v_add_f16_e32 v68, v68, v93
	v_fmamk_f16 v93, v50, 0xb770, v79
	v_pk_add_f16 v95, v4, v95
	v_bfi_b32 v97, 0xffff, v94, v92
	v_pk_fma_f16 v98, 0x2fb7, v26, v96 op_sel:[0,0,1] op_sel_hi:[0,1,0] neg_lo:[0,0,1] neg_hi:[0,0,1]
	v_pk_fma_f16 v96, 0x2fb7, v26, v96 op_sel:[0,0,1] op_sel_hi:[0,1,0]
	v_pk_mul_f16 v99, 0xbb7b, v15 op_sel_hi:[0,1]
	v_add_f16_e32 v37, v4, v51
	v_fma_f16 v51, v19, 0x2fb7, -v64
	v_add_f16_e32 v34, v34, v46
	v_lshrrev_b32_e32 v46, 16, v90
	v_add_f16_e32 v72, v72, v93
	v_pk_add_f16 v93, v95, v97
	v_bfi_b32 v95, 0xffff, v98, v96
	v_pk_fma_f16 v97, 0xb5ac, v24, v99 op_sel:[0,0,1] op_sel_hi:[0,1,0] neg_lo:[0,0,1] neg_hi:[0,0,1]
	v_pk_fma_f16 v99, 0xb5ac, v24, v99 op_sel:[0,0,1] op_sel_hi:[0,1,0]
	v_fmac_f16_e32 v56, 0x394e, v40
	v_add_f16_e32 v51, v31, v51
	v_fmac_f16_e32 v16, 0x3bf1, v40
	v_fmac_f16_e32 v70, 0xb3a8, v40
	;; [unrolled: 1-line block ×3, first 2 shown]
	v_add_f16_e32 v31, v31, v46
	v_lshrrev_b32_e32 v40, 16, v94
	v_pk_mul_f16 v100, 0xb94e, v11 op_sel_hi:[0,1]
	v_pk_add_f16 v93, v93, v95
	v_bfi_b32 v95, 0xffff, v97, v99
	v_add_f16_e32 v37, v37, v56
	v_add_f16_e32 v31, v31, v40
	v_lshrrev_b32_e32 v40, 16, v98
	v_pk_fma_f16 v101, 0xb9fd, v25, v100 op_sel:[0,0,1] op_sel_hi:[0,1,0] neg_lo:[0,0,1] neg_hi:[0,0,1]
	v_pk_add_f16 v35, v93, v95
	v_pk_mul_f16 v95, 0xb3a8, v8 op_sel_hi:[0,1]
	v_fmac_f16_e32 v59, 0x3770, v43
	v_fma_f16 v52, v30, 0xbbc4, -v52
	v_add_f16_e32 v31, v31, v40
	v_lshrrev_b32_e32 v40, 16, v97
	v_pk_fma_f16 v100, 0xb9fd, v25, v100 op_sel:[0,0,1] op_sel_hi:[0,1,0]
	v_pk_mul_f16 v28, 0xbbc4, v28 op_sel_hi:[0,1]
	v_pk_fma_f16 v48, 0xbbc4, v20, v95 op_sel:[0,0,1] op_sel_hi:[0,1,0] neg_lo:[0,0,1] neg_hi:[0,0,1]
	v_add_f16_e32 v36, v37, v59
	v_add_f16_e32 v37, v51, v52
	v_fma_f16 v51, v18, 0xb5ac, -v67
	v_add_f16_e32 v31, v31, v40
	v_lshrrev_b32_e32 v40, 16, v101
	v_bfi_b32 v93, 0xffff, v101, v100
	v_pk_fma_f16 v95, 0xbbc4, v20, v95 op_sel:[0,0,1] op_sel_hi:[0,1,0]
	v_fmac_f16_e32 v17, 0xb94e, v38
	v_fmac_f16_e32 v14, 0xba95, v43
	;; [unrolled: 1-line block ×4, first 2 shown]
	v_pk_fma_f16 v43, 0xb3a8, v23, v28 op_sel:[0,0,1] op_sel_hi:[0,1,0] neg_lo:[0,1,0] neg_hi:[0,1,0]
	v_pk_mul_f16 v27, 0x3b15, v27 op_sel_hi:[0,1]
	v_add_f16_e32 v37, v37, v51
	v_fma_f16 v51, v32, 0x3b15, -v71
	v_fma_f16 v19, v19, 0x388b, -v78
	v_add_f16_e32 v31, v31, v40
	v_lshrrev_b32_e32 v40, 16, v48
	v_pk_add_f16 v35, v35, v93
	v_bfi_b32 v45, 0xffff, v48, v95
	v_fmac_f16_e32 v65, 0xbbf1, v38
	v_pk_fma_f16 v46, 0x3770, v22, v27 op_sel:[0,0,1] op_sel_hi:[0,1,0] neg_lo:[0,1,0] neg_hi:[0,1,0]
	v_pk_mul_f16 v26, 0xb9fd, v26 op_sel_hi:[0,1]
	v_pack_b32_f16 v17, v17, v43
	v_add_f16_e32 v37, v37, v51
	v_fma_f16 v51, v44, 0x388b, -v74
	v_fmac_f16_e32 v66, 0xba95, v38
	v_fma_f16 v30, v30, 0xb5ac, -v80
	v_add_f16_e32 v31, v31, v40
	v_lshrrev_b32_e32 v40, 16, v43
	v_pk_fma_f16 v23, 0xb3a8, v23, v28 op_sel:[0,0,1] op_sel_hi:[0,1,0]
	v_pack_b32_f16 v19, v88, v19
	v_pk_add_f16 v35, v35, v45
	v_lshl_add_u32 v45, v7, 2, 0
	v_fmac_f16_e32 v13, 0x3770, v49
	v_add_f16_e32 v7, v4, v65
	v_fmac_f16_e32 v63, 0x33a8, v49
	v_fmac_f16_e32 v77, 0xba95, v49
	;; [unrolled: 1-line block ×3, first 2 shown]
	v_pk_fma_f16 v49, 0xb94e, v21, v26 op_sel:[0,0,1] op_sel_hi:[0,1,0] neg_lo:[0,1,0] neg_hi:[0,1,0]
	v_pk_mul_f16 v24, 0x388b, v24 op_sel_hi:[0,1]
	v_pk_add_f16 v17, v4, v17
	v_pack_b32_f16 v16, v16, v46
	v_add_f16_e32 v37, v37, v51
	v_fma_f16 v38, v47, 0xb9fd, -v76
	v_add_f16_e32 v51, v4, v66
	v_fma_f16 v18, v18, 0xbbc4, -v81
	v_add_f16_e32 v40, v4, v40
	v_pk_add_f16 v23, v4, v23 op_sel:[1,0] op_sel_hi:[0,1]
	v_pk_add_f16 v4, v4, v19
	v_pack_b32_f16 v19, v92, v30
	v_lshrrev_b32_e32 v48, 16, v46
	v_fmac_f16_e32 v12, 0x33a8, v41
	v_fmac_f16_e32 v10, 0xbb7b, v50
	v_add_f16_e32 v7, v7, v70
	v_fmac_f16_e32 v58, 0x3a95, v50
	v_fmac_f16_e32 v86, 0xb94e, v50
	;; [unrolled: 1-line block ×3, first 2 shown]
	v_pk_mul_f16 v25, 0xb5ac, v25 op_sel_hi:[0,1]
	v_pk_fma_f16 v50, 0x3a95, v15, v24 op_sel:[0,0,1] op_sel_hi:[0,1,0] neg_lo:[0,1,0] neg_hi:[0,1,0]
	v_pk_fma_f16 v22, 0x3770, v22, v27 op_sel:[0,0,1] op_sel_hi:[0,1,0]
	v_pk_add_f16 v16, v17, v16
	v_pack_b32_f16 v14, v14, v49
	v_add_f16_e32 v37, v37, v38
	v_add_f16_e32 v38, v51, v82
	v_fma_f16 v32, v32, 0xb9fd, -v83
	v_pk_add_f16 v4, v4, v19
	v_pack_b32_f16 v18, v96, v18
	v_add_f16_e32 v40, v40, v48
	v_lshrrev_b32_e32 v48, 16, v49
	v_fmac_f16_e32 v61, 0xbbf1, v41
	v_add_f16_e32 v7, v7, v73
	v_fmac_f16_e32 v75, 0x3770, v41
	v_pk_fma_f16 v28, 0xbb7b, v11, v25 op_sel:[0,0,1] op_sel_hi:[0,1,0] neg_lo:[0,1,0] neg_hi:[0,1,0]
	v_pk_mul_f16 v20, 0x2fb7, v20 op_sel_hi:[0,1]
	v_pk_add_f16 v22, v23, v22
	v_pk_fma_f16 v21, 0xb94e, v21, v26 op_sel:[0,0,1] op_sel_hi:[0,1,0]
	v_pk_add_f16 v14, v16, v14
	v_pack_b32_f16 v12, v12, v50
	v_add_f16_e32 v38, v38, v85
	v_fmac_f16_e32 v87, 0x394e, v41
	v_fma_f16 v41, v44, 0x2fb7, -v89
	v_pk_add_f16 v4, v4, v18
	v_pack_b32_f16 v18, v99, v32
	v_add_f16_e32 v40, v40, v48
	v_lshrrev_b32_e32 v48, 16, v50
	v_add_f16_e32 v36, v36, v61
	v_add_f16_e32 v7, v7, v75
	v_pk_fma_f16 v27, 0x3bf1, v8, v20 op_sel:[0,0,1] op_sel_hi:[0,1,0] neg_lo:[0,1,0] neg_hi:[0,1,0]
	v_pk_add_f16 v17, v22, v21
	v_pk_fma_f16 v15, 0x3a95, v15, v24 op_sel:[0,0,1] op_sel_hi:[0,1,0]
	v_pk_add_f16 v12, v14, v12
	v_pack_b32_f16 v13, v13, v28
	v_add_f16_e32 v38, v38, v87
	v_fma_f16 v44, v47, 0x3b15, -v91
	v_pk_add_f16 v4, v4, v18
	v_pack_b32_f16 v14, v100, v41
	v_add_f16_e32 v40, v40, v48
	v_lshrrev_b32_e32 v23, 16, v28
	v_add_f16_e32 v36, v36, v63
	v_add_f16_e32 v7, v7, v77
	v_pk_add_f16 v15, v17, v15
	v_pk_fma_f16 v11, 0xbb7b, v11, v25 op_sel:[0,0,1] op_sel_hi:[0,1,0]
	v_pk_add_f16 v12, v12, v13
	v_pack_b32_f16 v10, v10, v27
	v_add_f16_e32 v38, v38, v84
	v_pk_add_f16 v4, v4, v14
	v_pack_b32_f16 v13, v95, v44
	v_add_f16_e32 v16, v40, v23
	v_lshrrev_b32_e32 v17, 16, v27
	v_add_f16_e32 v36, v36, v58
	v_add_f16_e32 v7, v7, v86
	v_pk_add_f16 v11, v15, v11
	v_pk_fma_f16 v8, 0x3bf1, v8, v20 op_sel:[0,0,1] op_sel_hi:[0,1,0]
	v_pk_add_f16 v12, v12, v10
	v_add_f16_e32 v38, v38, v79
	v_pk_add_f16 v4, v4, v13
	v_pack_b32_f16 v39, v69, v39
	v_pack_b32_f16 v47, v72, v68
	;; [unrolled: 1-line block ×4, first 2 shown]
	v_add_f16_e32 v15, v16, v17
	v_pk_add_f16 v10, v11, v8
	v_alignbit_b32 v11, v12, v12, 16
	v_pack_b32_f16 v13, v34, v7
	v_pack_b32_f16 v12, v33, v36
	v_alignbit_b32 v8, v4, v4, 16
	v_pack_b32_f16 v7, v37, v38
	ds_store_2addr_b32 v45, v9, v35 offset0:169 offset1:170
	ds_store_2addr_b32 v45, v47, v39 offset0:171 offset1:172
	;; [unrolled: 1-line block ×3, first 2 shown]
	ds_store_b16 v45, v15 offset:700
	ds_store_b128 v45, v[10:13] offset:702
	ds_store_b64 v45, v[7:8] offset:718
	ds_store_b16 v45, v31 offset:726
.LBB0_17:
	s_wait_alu 0xfffe
	s_or_b32 exec_lo, exec_lo, s1
	v_add_nc_u16 v9, v3, 0x4e
	v_mov_b32_e32 v4, 0
	v_add_nc_u16 v10, v3, 52
	v_add_nc_u16 v11, v3, 39
	v_add_nc_u16 v12, v3, 26
	v_and_b32_e32 v13, 0xff, v9
	v_lshlrev_b64_e32 v[7:8], 2, v[3:4]
	v_add_nc_u16 v4, v3, 0x41
	v_and_b32_e32 v15, 0xff, v10
	v_and_b32_e32 v16, 0xff, v11
	;; [unrolled: 1-line block ×3, first 2 shown]
	v_mul_lo_u16 v13, 0x4f, v13
	v_and_b32_e32 v14, 0xff, v4
	v_mul_lo_u16 v15, 0x4f, v15
	v_mul_lo_u16 v16, 0x4f, v16
	;; [unrolled: 1-line block ×3, first 2 shown]
	v_lshrrev_b16 v13, 10, v13
	v_mul_lo_u16 v14, 0x4f, v14
	v_lshrrev_b16 v15, 10, v15
	v_lshrrev_b16 v16, 10, v16
	;; [unrolled: 1-line block ×3, first 2 shown]
	v_mul_lo_u16 v13, v13, 13
	v_lshrrev_b16 v14, 10, v14
	v_mul_lo_u16 v15, v15, 13
	v_mul_lo_u16 v16, v16, 13
	v_mul_lo_u16 v17, v17, 13
	v_sub_nc_u16 v9, v9, v13
	v_mul_lo_u16 v14, v14, 13
	v_sub_nc_u16 v10, v10, v15
	v_sub_nc_u16 v11, v11, v16
	;; [unrolled: 1-line block ×3, first 2 shown]
	v_and_b32_e32 v9, 0xff, v9
	v_sub_nc_u16 v4, v4, v14
	v_and_b32_e32 v10, 0xff, v10
	v_and_b32_e32 v11, 0xff, v11
	;; [unrolled: 1-line block ×3, first 2 shown]
	v_lshlrev_b32_e32 v19, 2, v9
	v_and_b32_e32 v4, 0xff, v4
	v_lshlrev_b32_e32 v21, 2, v10
	v_add_co_u32 v7, s0, s8, v7
	v_lshlrev_b32_e32 v22, 2, v11
	s_delay_alu instid0(VALU_DEP_4)
	v_lshlrev_b32_e32 v20, 2, v4
	v_lshlrev_b32_e32 v23, 2, v12
	global_wb scope:SCOPE_SE
	s_wait_dscnt 0x0
	s_wait_kmcnt 0x0
	s_barrier_signal -1
	s_barrier_wait -1
	global_inv scope:SCOPE_SE
	s_wait_alu 0xf1ff
	v_add_co_ci_u32_e64 v8, s0, s9, v8, s0
	s_clause 0x5
	global_load_b32 v24, v19, s[8:9]
	global_load_b32 v25, v20, s[8:9]
	;; [unrolled: 1-line block ×5, first 2 shown]
	global_load_b32 v29, v[7:8], off
	v_lshlrev_b32_e32 v9, 2, v3
	v_add_nc_u32_e32 v30, 0, v0
	s_delay_alu instid0(VALU_DEP_2)
	v_add3_u32 v4, 0, v9, v0
	ds_load_b32 v31, v4 offset:676
	ds_load_2addr_b32 v[7:8], v4 offset0:143 offset1:156
	v_add_nc_u32_e32 v0, v30, v9
	ds_load_2addr_b32 v[9:10], v4 offset0:117 offset1:130
	ds_load_2addr_b32 v[11:12], v4 offset0:91 offset1:104
	ds_load_b32 v32, v0
	ds_load_2addr_b32 v[13:14], v4 offset0:13 offset1:26
	ds_load_2addr_b32 v[15:16], v4 offset0:39 offset1:52
	;; [unrolled: 1-line block ×3, first 2 shown]
	v_add_nc_u32_e32 v23, v30, v23
	v_add_nc_u32_e32 v22, v30, v22
	;; [unrolled: 1-line block ×5, first 2 shown]
	global_wb scope:SCOPE_SE
	s_wait_loadcnt_dscnt 0x0
	s_barrier_signal -1
	s_barrier_wait -1
	global_inv scope:SCOPE_SE
	v_pk_mul_f16 v30, v31, v24 op_sel:[0,1]
	v_pk_mul_f16 v33, v8, v25 op_sel:[0,1]
	;; [unrolled: 1-line block ×7, first 2 shown]
	v_pk_fma_f16 v39, v31, v24, v30 op_sel:[0,0,1] op_sel_hi:[1,1,0] neg_lo:[0,0,1] neg_hi:[0,0,1]
	v_pk_fma_f16 v24, v31, v24, v30 op_sel:[0,0,1] op_sel_hi:[1,0,0]
	v_pk_fma_f16 v30, v8, v25, v33 op_sel:[0,0,1] op_sel_hi:[1,1,0] neg_lo:[0,0,1] neg_hi:[0,0,1]
	v_pk_fma_f16 v8, v8, v25, v33 op_sel:[0,0,1] op_sel_hi:[1,0,0]
	;; [unrolled: 2-line block ×7, first 2 shown]
	v_bfi_b32 v9, 0xffff, v27, v9
	v_bfi_b32 v10, 0xffff, v26, v10
	;; [unrolled: 1-line block ×7, first 2 shown]
	v_pk_add_f16 v11, v32, v11 neg_lo:[0,1] neg_hi:[0,1]
	v_pk_add_f16 v9, v14, v9 neg_lo:[0,1] neg_hi:[0,1]
	;; [unrolled: 1-line block ×7, first 2 shown]
	v_pk_fma_f16 v25, v32, 2.0, v11 op_sel_hi:[1,0,1] neg_lo:[0,0,1] neg_hi:[0,0,1]
	v_pk_fma_f16 v13, v13, 2.0, v12 op_sel_hi:[1,0,1] neg_lo:[0,0,1] neg_hi:[0,0,1]
	;; [unrolled: 1-line block ×7, first 2 shown]
	ds_store_2addr_b32 v4, v25, v11 offset1:13
	ds_store_2addr_b32 v4, v13, v12 offset0:26 offset1:39
	ds_store_2addr_b32 v23, v14, v9 offset0:52 offset1:65
	;; [unrolled: 1-line block ×6, first 2 shown]
	global_wb scope:SCOPE_SE
	s_wait_dscnt 0x0
	s_barrier_signal -1
	s_barrier_wait -1
	global_inv scope:SCOPE_SE
	s_and_saveexec_b32 s0, vcc_lo
	s_cbranch_execz .LBB0_19
; %bb.18:
	v_mul_u32_u24_e32 v7, 6, v3
	v_add_nc_u32_e32 v12, 13, v3
	v_mul_lo_u32 v31, s3, v5
	v_mul_lo_u32 v32, s2, v6
	v_mad_co_u64_u32 v[5:6], null, s2, v5, 0
	v_lshlrev_b32_e32 v11, 2, v7
	v_mul_u32_u24_e32 v12, 6, v12
	v_mul_hi_u32 v34, 0x4ec4ec4f, v3
	s_clause 0x1
	global_load_b128 v[7:10], v11, s[8:9] offset:52
	global_load_b64 v[15:16], v11, s[8:9] offset:68
	v_lshlrev_b32_e32 v17, 2, v12
	v_add3_u32 v6, v6, v32, v31
	s_clause 0x1
	global_load_b128 v[11:14], v17, s[8:9] offset:52
	global_load_b64 v[17:18], v17, s[8:9] offset:68
	v_lshrrev_b32_e32 v31, 3, v34
	ds_load_2addr_b32 v[19:20], v4 offset0:39 offset1:52
	ds_load_2addr_b32 v[21:22], v4 offset0:117 offset1:130
	;; [unrolled: 1-line block ×3, first 2 shown]
	ds_load_b32 v50, v4 offset:676
	ds_load_2addr_b32 v[25:26], v4 offset0:65 offset1:78
	ds_load_2addr_b32 v[27:28], v4 offset0:143 offset1:156
	;; [unrolled: 1-line block ×3, first 2 shown]
	ds_load_b32 v51, v0
	v_lshlrev_b64_e32 v[0:1], 2, v[1:2]
	v_mul_lo_u32 v2, v31, 26
	v_lshlrev_b64_e32 v[4:5], 2, v[5:6]
	s_delay_alu instid0(VALU_DEP_1) | instskip(NEXT) | instid1(VALU_DEP_3)
	v_add_co_u32 v4, vcc_lo, s6, v4
	v_sub_nc_u32_e32 v41, v3, v2
	s_wait_alu 0xfffd
	s_delay_alu instid0(VALU_DEP_3) | instskip(NEXT) | instid1(VALU_DEP_3)
	v_add_co_ci_u32_e32 v5, vcc_lo, s7, v5, vcc_lo
	v_add_co_u32 v66, vcc_lo, v4, v0
	s_delay_alu instid0(VALU_DEP_3)
	v_add_nc_u32_e32 v45, 0x4e, v41
	v_add_nc_u32_e32 v42, 26, v41
	;; [unrolled: 1-line block ×4, first 2 shown]
	s_wait_alu 0xfffd
	v_add_co_ci_u32_e32 v67, vcc_lo, v5, v1, vcc_lo
	v_mad_co_u64_u32 v[31:32], null, s16, v45, 0
	v_add_nc_u32_e32 v33, 13, v3
	v_mad_co_u64_u32 v[3:4], null, s16, v42, 0
	v_mad_co_u64_u32 v[0:1], null, s16, v41, 0
	s_delay_alu instid0(VALU_DEP_3)
	v_mul_hi_u32 v35, 0x4ec4ec4f, v33
	v_add_nc_u32_e32 v47, 0x82, v41
	v_add_nc_u32_e32 v48, 0x9c, v41
	s_wait_dscnt 0x1
	v_lshrrev_b32_e32 v59, 16, v30
	v_lshrrev_b32_e32 v60, 16, v28
	;; [unrolled: 1-line block ×4, first 2 shown]
	v_mad_co_u64_u32 v[37:38], null, s16, v48, 0
	v_lshrrev_b32_e32 v39, 3, v35
	v_mad_co_u64_u32 v[35:36], null, s16, v47, 0
	v_lshrrev_b32_e32 v63, 16, v20
	v_lshrrev_b32_e32 v64, 16, v22
	s_delay_alu instid0(VALU_DEP_4)
	v_mul_lo_u32 v6, v39, 26
	v_lshrrev_b32_e32 v52, 16, v19
	v_lshrrev_b32_e32 v53, 16, v50
	;; [unrolled: 1-line block ×6, first 2 shown]
	s_wait_dscnt 0x0
	v_lshrrev_b32_e32 v65, 16, v51
	v_sub_nc_u32_e32 v2, v33, v6
	v_mad_co_u64_u32 v[5:6], null, s16, v44, 0
	v_mad_co_u64_u32 v[33:34], null, s16, v46, 0
	s_delay_alu instid0(VALU_DEP_3)
	v_mad_co_u64_u32 v[39:40], null, 0xb6, v39, v[2:3]
	v_mad_co_u64_u32 v[1:2], null, s17, v41, v[1:2]
	v_mov_b32_e32 v2, v4
	v_mov_b32_e32 v4, v6
	;; [unrolled: 1-line block ×6, first 2 shown]
	v_mad_co_u64_u32 v[40:41], null, s16, v39, 0
	v_mad_co_u64_u32 v[42:43], null, s17, v42, v[2:3]
	v_add_nc_u32_e32 v68, 26, v39
	v_mad_co_u64_u32 v[43:44], null, s17, v44, v[4:5]
	v_lshlrev_b64_e32 v[0:1], 2, v[0:1]
	v_mov_b32_e32 v2, v41
	v_lshrrev_b32_e32 v58, 16, v29
	v_mov_b32_e32 v4, v42
	s_delay_alu instid0(VALU_DEP_3) | instskip(NEXT) | instid1(VALU_DEP_2)
	v_mad_co_u64_u32 v[41:42], null, s17, v39, v[2:3]
	v_lshlrev_b64_e32 v[3:4], 2, v[3:4]
	v_add_co_u32 v0, vcc_lo, v66, v0
	s_wait_alu 0xfffd
	v_add_co_ci_u32_e32 v1, vcc_lo, v67, v1, vcc_lo
	s_delay_alu instid0(VALU_DEP_4)
	v_lshlrev_b64_e32 v[40:41], 2, v[40:41]
	s_wait_loadcnt 0x3
	v_mad_co_u64_u32 v[44:45], null, s17, v45, v[6:7]
	v_mad_co_u64_u32 v[45:46], null, s17, v46, v[32:33]
	;; [unrolled: 1-line block ×5, first 2 shown]
	v_mov_b32_e32 v6, v43
	v_mov_b32_e32 v32, v44
	;; [unrolled: 1-line block ×5, first 2 shown]
	v_lshlrev_b64_e32 v[5:6], 2, v[5:6]
	v_mov_b32_e32 v2, v49
	v_lshrrev_b32_e32 v44, 16, v9
	v_lshrrev_b32_e32 v45, 16, v10
	s_wait_loadcnt 0x2
	v_lshrrev_b32_e32 v46, 16, v15
	v_lshrrev_b32_e32 v47, 16, v16
	v_mad_co_u64_u32 v[42:43], null, s17, v68, v[2:3]
	v_add_co_u32 v2, vcc_lo, v66, v3
	s_wait_alu 0xfffd
	v_add_co_ci_u32_e32 v3, vcc_lo, v67, v4, vcc_lo
	v_add_co_u32 v4, vcc_lo, v66, v5
	s_wait_alu 0xfffd
	v_add_co_ci_u32_e32 v5, vcc_lo, v67, v6, vcc_lo
	v_lshrrev_b32_e32 v6, 16, v7
	v_lshrrev_b32_e32 v43, 16, v8
	v_mul_f16_e32 v49, v16, v60
	v_mul_f16_e32 v68, v7, v59
	;; [unrolled: 1-line block ×6, first 2 shown]
	s_wait_loadcnt 0x1
	v_lshrrev_b32_e32 v73, 16, v11
	v_lshrrev_b32_e32 v74, 16, v12
	;; [unrolled: 1-line block ×4, first 2 shown]
	s_wait_loadcnt 0x0
	v_lshrrev_b32_e32 v77, 16, v17
	v_lshrrev_b32_e32 v78, 16, v18
	v_mul_f16_e32 v79, v18, v53
	v_mul_f16_e32 v80, v11, v52
	v_mul_f16_e32 v81, v13, v55
	v_mul_f16_e32 v82, v14, v54
	v_mul_f16_e32 v83, v17, v57
	v_mul_f16_e32 v84, v12, v56
	v_mul_f16_e32 v59, v6, v59
	v_mul_f16_e32 v60, v47, v60
	v_mul_f16_e32 v61, v45, v61
	v_mul_f16_e32 v62, v44, v62
	v_mul_f16_e32 v63, v43, v63
	v_mul_f16_e32 v64, v46, v64
	v_fmac_f16_e32 v49, v28, v47
	v_fmac_f16_e32 v68, v6, v30
	;; [unrolled: 1-line block ×6, first 2 shown]
	v_mul_f16_e32 v6, v73, v52
	v_mul_f16_e32 v43, v78, v53
	;; [unrolled: 1-line block ×6, first 2 shown]
	v_fmac_f16_e32 v79, v50, v78
	v_fmac_f16_e32 v80, v19, v73
	;; [unrolled: 1-line block ×6, first 2 shown]
	v_fma_f16 v7, v7, v30, -v59
	v_fma_f16 v16, v16, v28, -v60
	;; [unrolled: 1-line block ×6, first 2 shown]
	v_add_f16_e32 v20, v68, v49
	v_add_f16_e32 v22, v70, v69
	;; [unrolled: 1-line block ×3, first 2 shown]
	v_sub_f16_e32 v26, v68, v49
	v_sub_f16_e32 v28, v70, v69
	;; [unrolled: 1-line block ×3, first 2 shown]
	v_fma_f16 v6, v11, v19, -v6
	v_fma_f16 v11, v18, v50, -v43
	v_fma_f16 v14, v14, v21, -v44
	v_fma_f16 v13, v13, v23, -v45
	v_fma_f16 v12, v12, v25, -v46
	v_fma_f16 v17, v17, v27, -v47
	v_add_f16_e32 v18, v80, v79
	v_add_f16_e32 v19, v82, v81
	;; [unrolled: 1-line block ×3, first 2 shown]
	v_sub_f16_e32 v23, v80, v79
	v_sub_f16_e32 v25, v82, v81
	;; [unrolled: 1-line block ×7, first 2 shown]
	v_add_f16_e32 v49, v20, v24
	v_add_f16_e32 v7, v7, v16
	;; [unrolled: 1-line block ×4, first 2 shown]
	v_sub_f16_e32 v46, v20, v22
	v_sub_f16_e32 v10, v26, v28
	;; [unrolled: 1-line block ×3, first 2 shown]
	v_add_f16_e32 v16, v28, v30
	v_sub_f16_e32 v20, v24, v20
	v_sub_f16_e32 v24, v30, v26
	;; [unrolled: 1-line block ×7, first 2 shown]
	v_add_f16_e32 v54, v18, v21
	v_add_f16_e32 v6, v6, v11
	;; [unrolled: 1-line block ×4, first 2 shown]
	v_sub_f16_e32 v13, v23, v25
	v_sub_f16_e32 v14, v25, v27
	v_add_f16_e32 v17, v25, v27
	v_sub_f16_e32 v18, v21, v18
	v_sub_f16_e32 v21, v27, v23
	v_sub_f16_e32 v25, v43, v44
	v_sub_f16_e32 v27, v44, v45
	v_add_f16_e32 v44, v44, v45
	v_mul_f16_e32 v47, 0x2b26, v47
	v_add_f16_e32 v22, v22, v49
	v_sub_f16_e32 v56, v9, v8
	v_add_f16_e32 v57, v7, v8
	v_mul_f16_e32 v55, 0x3a52, v46
	v_sub_f16_e32 v49, v7, v9
	v_mul_f16_e32 v15, 0xb846, v15
	v_add_f16_e32 v16, v26, v16
	v_sub_f16_e32 v26, v45, v43
	v_sub_f16_e32 v45, v28, v30
	;; [unrolled: 1-line block ×3, first 2 shown]
	v_add_f16_e32 v30, v30, v50
	v_add_f16_e32 v19, v19, v54
	;; [unrolled: 1-line block ×3, first 2 shown]
	v_mul_f16_e32 v14, 0xb846, v14
	v_add_f16_e32 v43, v43, v44
	v_fmamk_f16 v44, v46, 0x3a52, v47
	v_add_f16_e32 v46, v22, v65
	v_mul_f16_e32 v56, 0x2b26, v56
	v_add_f16_e32 v9, v9, v57
	v_sub_f16_e32 v7, v8, v7
	v_mul_f16_e32 v8, 0x3b00, v24
	v_mul_f16_e32 v60, 0x3a52, v52
	;; [unrolled: 1-line block ×3, first 2 shown]
	v_sub_f16_e32 v54, v6, v11
	v_sub_f16_e32 v61, v11, v12
	v_add_f16_e32 v17, v23, v17
	v_sub_f16_e32 v23, v50, v28
	v_sub_f16_e32 v6, v12, v6
	v_mul_f16_e32 v12, 0x3b00, v21
	v_mul_f16_e32 v27, 0xb846, v27
	;; [unrolled: 1-line block ×3, first 2 shown]
	v_fmamk_f16 v57, v10, 0x3574, v15
	v_fma_f16 v15, v24, 0x3b00, -v15
	v_add_f16_e32 v24, v28, v30
	v_add_f16_e32 v30, v19, v58
	;; [unrolled: 1-line block ×3, first 2 shown]
	v_fmamk_f16 v58, v13, 0x3574, v14
	v_fma_f16 v14, v21, 0x3b00, -v14
	v_fmamk_f16 v21, v22, 0xbcab, v46
	v_fmamk_f16 v22, v49, 0x3a52, v56
	v_add_f16_e32 v49, v9, v51
	v_mul_f16_e32 v63, 0x3b00, v26
	v_fma_f16 v55, v20, 0xb9e0, -v55
	v_fma_f16 v8, v10, 0xb574, -v8
	v_fma_f16 v10, v20, 0x39e0, -v47
	v_mul_f16_e32 v20, 0xb846, v59
	v_fmamk_f16 v28, v52, 0x3a52, v53
	v_mul_f16_e32 v52, 0x2b26, v61
	v_mul_f16_e32 v59, 0x3b00, v23
	v_fma_f16 v60, v18, 0xb9e0, -v60
	v_fma_f16 v12, v13, 0xb574, -v12
	;; [unrolled: 1-line block ×3, first 2 shown]
	v_fmamk_f16 v18, v25, 0x3574, v27
	v_fma_f16 v50, v7, 0xb9e0, -v50
	v_fma_f16 v26, v26, 0x3b00, -v27
	v_fma_f16 v7, v7, 0x39e0, -v56
	v_add_f16_e32 v29, v11, v29
	v_fmamk_f16 v9, v9, 0xbcab, v49
	v_mul_f16_e32 v47, 0x3a52, v54
	v_fma_f16 v25, v25, 0xb574, -v63
	v_lshlrev_b64_e32 v[31:32], 2, v[31:32]
	v_lshlrev_b64_e32 v[33:34], 2, v[33:34]
	v_fmac_f16_e32 v57, 0x370e, v16
	v_fmac_f16_e32 v8, 0x370e, v16
	;; [unrolled: 1-line block ×3, first 2 shown]
	v_fmamk_f16 v16, v45, 0x3574, v20
	v_fmamk_f16 v19, v19, 0xbcab, v30
	;; [unrolled: 1-line block ×3, first 2 shown]
	v_fmac_f16_e32 v58, 0x370e, v17
	v_fma_f16 v45, v45, 0xb574, -v59
	v_fmac_f16_e32 v12, 0x370e, v17
	v_fma_f16 v20, v23, 0x3b00, -v20
	v_fmac_f16_e32 v14, 0x370e, v17
	v_fmac_f16_e32 v18, 0x370e, v43
	v_add_f16_e32 v17, v44, v21
	v_add_f16_e32 v23, v55, v21
	;; [unrolled: 1-line block ×3, first 2 shown]
	v_fmac_f16_e32 v26, 0x370e, v43
	v_pack_b32_f16 v21, v49, v46
	v_fmamk_f16 v11, v11, 0xbcab, v29
	v_add_f16_e32 v22, v22, v9
	v_add_f16_e32 v7, v7, v9
	v_fma_f16 v47, v6, 0xb9e0, -v47
	v_fmac_f16_e32 v25, 0x370e, v43
	v_add_f16_e32 v44, v50, v9
	v_fma_f16 v6, v6, 0x39e0, -v52
	v_lshlrev_b64_e32 v[35:36], 2, v[35:36]
	v_add_co_u32 v31, vcc_lo, v66, v31
	s_wait_alu 0xfffd
	v_add_co_ci_u32_e32 v32, vcc_lo, v67, v32, vcc_lo
	v_fmac_f16_e32 v16, 0x370e, v24
	v_add_f16_e32 v28, v28, v19
	v_fmac_f16_e32 v45, 0x370e, v24
	v_add_f16_e32 v43, v60, v19
	v_add_f16_e32 v13, v13, v19
	v_fmac_f16_e32 v20, 0x370e, v24
	v_add_f16_e32 v19, v18, v17
	v_sub_f16_e32 v46, v10, v26
	v_add_f16_e32 v9, v26, v10
	v_sub_f16_e32 v17, v17, v18
	global_store_b32 v[0:1], v21, off
	v_add_f16_e32 v0, v27, v11
	v_add_f16_e32 v26, v15, v7
	v_sub_f16_e32 v7, v7, v15
	v_add_f16_e32 v15, v57, v22
	v_lshlrev_b64_e32 v[37:38], 2, v[37:38]
	v_add_co_u32 v33, vcc_lo, v66, v33
	v_add_f16_e32 v24, v25, v23
	v_sub_f16_e32 v10, v23, v25
	v_add_f16_e32 v1, v47, v11
	v_sub_f16_e32 v25, v44, v8
	v_add_f16_e32 v8, v8, v44
	v_add_f16_e32 v6, v6, v11
	s_wait_alu 0xfffd
	v_add_co_ci_u32_e32 v34, vcc_lo, v67, v34, vcc_lo
	v_add_co_u32 v35, vcc_lo, v66, v35
	v_add_f16_e32 v18, v16, v28
	v_add_f16_e32 v21, v45, v43
	v_sub_f16_e32 v23, v13, v20
	v_add_f16_e32 v20, v20, v13
	v_sub_f16_e32 v13, v43, v45
	v_sub_f16_e32 v11, v28, v16
	;; [unrolled: 1-line block ×4, first 2 shown]
	v_add_f16_e32 v43, v58, v0
	v_pack_b32_f16 v0, v15, v17
	s_wait_alu 0xfffd
	v_add_co_ci_u32_e32 v36, vcc_lo, v67, v36, vcc_lo
	v_sub_f16_e32 v27, v1, v12
	v_add_f16_e32 v12, v12, v1
	v_pack_b32_f16 v1, v8, v10
	v_add_co_u32 v37, vcc_lo, v66, v37
	v_add_f16_e32 v28, v14, v6
	v_sub_f16_e32 v14, v6, v14
	v_pack_b32_f16 v6, v7, v9
	v_pack_b32_f16 v8, v25, v24
	;; [unrolled: 1-line block ×3, first 2 shown]
	s_wait_alu 0xfffd
	v_add_co_ci_u32_e32 v38, vcc_lo, v67, v38, vcc_lo
	s_clause 0x3
	global_store_b32 v[2:3], v0, off
	global_store_b32 v[4:5], v1, off
	;; [unrolled: 1-line block ×4, first 2 shown]
	v_add_co_u32 v0, vcc_lo, v66, v40
	v_pack_b32_f16 v9, v16, v19
	s_wait_alu 0xfffd
	v_add_co_ci_u32_e32 v1, vcc_lo, v67, v41, vcc_lo
	v_pack_b32_f16 v2, v29, v30
	global_store_b32 v[35:36], v8, off
	v_add_nc_u32_e32 v8, 52, v39
	v_add_nc_u32_e32 v10, 0x4e, v39
	;; [unrolled: 1-line block ×3, first 2 shown]
	s_clause 0x1
	global_store_b32 v[37:38], v9, off
	global_store_b32 v[0:1], v2, off
	v_mad_co_u64_u32 v[2:3], null, s16, v8, 0
	v_mad_co_u64_u32 v[4:5], null, s16, v10, 0
	;; [unrolled: 1-line block ×3, first 2 shown]
	v_mov_b32_e32 v49, v42
	v_add_nc_u32_e32 v17, 0x82, v39
	v_pack_b32_f16 v16, v43, v11
	v_mad_co_u64_u32 v[8:9], null, s17, v8, v[3:4]
	s_delay_alu instid0(VALU_DEP_4) | instskip(SKIP_3) | instid1(VALU_DEP_4)
	v_lshlrev_b64_e32 v[0:1], 2, v[48:49]
	v_mad_co_u64_u32 v[9:10], null, s17, v10, v[5:6]
	v_mov_b32_e32 v5, v7
	v_mad_co_u64_u32 v[10:11], null, s16, v17, 0
	v_add_co_u32 v0, vcc_lo, v66, v0
	v_mov_b32_e32 v3, v8
	s_delay_alu instid0(VALU_DEP_4) | instskip(SKIP_4) | instid1(VALU_DEP_3)
	v_mad_co_u64_u32 v[7:8], null, s17, v15, v[5:6]
	v_add_nc_u32_e32 v15, 0x9c, v39
	s_wait_alu 0xfffd
	v_add_co_ci_u32_e32 v1, vcc_lo, v67, v1, vcc_lo
	v_mov_b32_e32 v5, v9
	v_mad_co_u64_u32 v[8:9], null, s16, v15, 0
	global_store_b32 v[0:1], v16, off
	v_lshlrev_b64_e32 v[0:1], 2, v[2:3]
	v_mov_b32_e32 v2, v11
	v_lshlrev_b64_e32 v[4:5], 2, v[4:5]
	v_pack_b32_f16 v16, v12, v13
	v_lshlrev_b64_e32 v[6:7], 2, v[6:7]
	s_delay_alu instid0(VALU_DEP_4) | instskip(SKIP_4) | instid1(VALU_DEP_3)
	v_mad_co_u64_u32 v[2:3], null, s17, v17, v[2:3]
	v_mov_b32_e32 v3, v9
	v_add_co_u32 v0, vcc_lo, v66, v0
	s_wait_alu 0xfffd
	v_add_co_ci_u32_e32 v1, vcc_lo, v67, v1, vcc_lo
	v_mad_co_u64_u32 v[12:13], null, s17, v15, v[3:4]
	v_mov_b32_e32 v11, v2
	v_add_co_u32 v2, vcc_lo, v66, v4
	s_wait_alu 0xfffd
	v_add_co_ci_u32_e32 v3, vcc_lo, v67, v5, vcc_lo
	s_delay_alu instid0(VALU_DEP_3) | instskip(SKIP_4) | instid1(VALU_DEP_3)
	v_lshlrev_b64_e32 v[4:5], 2, v[10:11]
	v_mov_b32_e32 v9, v12
	v_add_co_u32 v6, vcc_lo, v66, v6
	s_wait_alu 0xfffd
	v_add_co_ci_u32_e32 v7, vcc_lo, v67, v7, vcc_lo
	v_lshlrev_b64_e32 v[8:9], 2, v[8:9]
	v_add_co_u32 v4, vcc_lo, v66, v4
	v_pack_b32_f16 v13, v14, v20
	s_wait_alu 0xfffd
	v_add_co_ci_u32_e32 v5, vcc_lo, v67, v5, vcc_lo
	v_pack_b32_f16 v10, v28, v23
	v_add_co_u32 v8, vcc_lo, v66, v8
	v_pack_b32_f16 v11, v27, v21
	s_wait_alu 0xfffd
	v_add_co_ci_u32_e32 v9, vcc_lo, v67, v9, vcc_lo
	v_pack_b32_f16 v12, v22, v18
	s_clause 0x4
	global_store_b32 v[0:1], v16, off
	global_store_b32 v[2:3], v13, off
	;; [unrolled: 1-line block ×5, first 2 shown]
.LBB0_19:
	s_nop 0
	s_sendmsg sendmsg(MSG_DEALLOC_VGPRS)
	s_endpgm
	.section	.rodata,"a",@progbits
	.p2align	6, 0x0
	.amdhsa_kernel fft_rtc_fwd_len182_factors_13_2_7_wgs_52_tpt_13_half_op_CI_CI_sbrr_dirReg
		.amdhsa_group_segment_fixed_size 0
		.amdhsa_private_segment_fixed_size 0
		.amdhsa_kernarg_size 104
		.amdhsa_user_sgpr_count 2
		.amdhsa_user_sgpr_dispatch_ptr 0
		.amdhsa_user_sgpr_queue_ptr 0
		.amdhsa_user_sgpr_kernarg_segment_ptr 1
		.amdhsa_user_sgpr_dispatch_id 0
		.amdhsa_user_sgpr_private_segment_size 0
		.amdhsa_wavefront_size32 1
		.amdhsa_uses_dynamic_stack 0
		.amdhsa_enable_private_segment 0
		.amdhsa_system_sgpr_workgroup_id_x 1
		.amdhsa_system_sgpr_workgroup_id_y 0
		.amdhsa_system_sgpr_workgroup_id_z 0
		.amdhsa_system_sgpr_workgroup_info 0
		.amdhsa_system_vgpr_workitem_id 0
		.amdhsa_next_free_vgpr 102
		.amdhsa_next_free_sgpr 43
		.amdhsa_reserve_vcc 1
		.amdhsa_float_round_mode_32 0
		.amdhsa_float_round_mode_16_64 0
		.amdhsa_float_denorm_mode_32 3
		.amdhsa_float_denorm_mode_16_64 3
		.amdhsa_fp16_overflow 0
		.amdhsa_workgroup_processor_mode 1
		.amdhsa_memory_ordered 1
		.amdhsa_forward_progress 0
		.amdhsa_round_robin_scheduling 0
		.amdhsa_exception_fp_ieee_invalid_op 0
		.amdhsa_exception_fp_denorm_src 0
		.amdhsa_exception_fp_ieee_div_zero 0
		.amdhsa_exception_fp_ieee_overflow 0
		.amdhsa_exception_fp_ieee_underflow 0
		.amdhsa_exception_fp_ieee_inexact 0
		.amdhsa_exception_int_div_zero 0
	.end_amdhsa_kernel
	.text
.Lfunc_end0:
	.size	fft_rtc_fwd_len182_factors_13_2_7_wgs_52_tpt_13_half_op_CI_CI_sbrr_dirReg, .Lfunc_end0-fft_rtc_fwd_len182_factors_13_2_7_wgs_52_tpt_13_half_op_CI_CI_sbrr_dirReg
                                        ; -- End function
	.section	.AMDGPU.csdata,"",@progbits
; Kernel info:
; codeLenInByte = 12492
; NumSgprs: 45
; NumVgprs: 102
; ScratchSize: 0
; MemoryBound: 0
; FloatMode: 240
; IeeeMode: 1
; LDSByteSize: 0 bytes/workgroup (compile time only)
; SGPRBlocks: 5
; VGPRBlocks: 12
; NumSGPRsForWavesPerEU: 45
; NumVGPRsForWavesPerEU: 102
; Occupancy: 12
; WaveLimiterHint : 1
; COMPUTE_PGM_RSRC2:SCRATCH_EN: 0
; COMPUTE_PGM_RSRC2:USER_SGPR: 2
; COMPUTE_PGM_RSRC2:TRAP_HANDLER: 0
; COMPUTE_PGM_RSRC2:TGID_X_EN: 1
; COMPUTE_PGM_RSRC2:TGID_Y_EN: 0
; COMPUTE_PGM_RSRC2:TGID_Z_EN: 0
; COMPUTE_PGM_RSRC2:TIDIG_COMP_CNT: 0
	.text
	.p2alignl 7, 3214868480
	.fill 96, 4, 3214868480
	.type	__hip_cuid_79be7846fe3f13e4,@object ; @__hip_cuid_79be7846fe3f13e4
	.section	.bss,"aw",@nobits
	.globl	__hip_cuid_79be7846fe3f13e4
__hip_cuid_79be7846fe3f13e4:
	.byte	0                               ; 0x0
	.size	__hip_cuid_79be7846fe3f13e4, 1

	.ident	"AMD clang version 19.0.0git (https://github.com/RadeonOpenCompute/llvm-project roc-6.4.0 25133 c7fe45cf4b819c5991fe208aaa96edf142730f1d)"
	.section	".note.GNU-stack","",@progbits
	.addrsig
	.addrsig_sym __hip_cuid_79be7846fe3f13e4
	.amdgpu_metadata
---
amdhsa.kernels:
  - .args:
      - .actual_access:  read_only
        .address_space:  global
        .offset:         0
        .size:           8
        .value_kind:     global_buffer
      - .offset:         8
        .size:           8
        .value_kind:     by_value
      - .actual_access:  read_only
        .address_space:  global
        .offset:         16
        .size:           8
        .value_kind:     global_buffer
      - .actual_access:  read_only
        .address_space:  global
        .offset:         24
        .size:           8
        .value_kind:     global_buffer
      - .actual_access:  read_only
        .address_space:  global
        .offset:         32
        .size:           8
        .value_kind:     global_buffer
      - .offset:         40
        .size:           8
        .value_kind:     by_value
      - .actual_access:  read_only
        .address_space:  global
        .offset:         48
        .size:           8
        .value_kind:     global_buffer
      - .actual_access:  read_only
        .address_space:  global
        .offset:         56
        .size:           8
        .value_kind:     global_buffer
      - .offset:         64
        .size:           4
        .value_kind:     by_value
      - .actual_access:  read_only
        .address_space:  global
        .offset:         72
        .size:           8
        .value_kind:     global_buffer
      - .actual_access:  read_only
        .address_space:  global
        .offset:         80
        .size:           8
        .value_kind:     global_buffer
      - .actual_access:  read_only
        .address_space:  global
        .offset:         88
        .size:           8
        .value_kind:     global_buffer
      - .actual_access:  write_only
        .address_space:  global
        .offset:         96
        .size:           8
        .value_kind:     global_buffer
    .group_segment_fixed_size: 0
    .kernarg_segment_align: 8
    .kernarg_segment_size: 104
    .language:       OpenCL C
    .language_version:
      - 2
      - 0
    .max_flat_workgroup_size: 52
    .name:           fft_rtc_fwd_len182_factors_13_2_7_wgs_52_tpt_13_half_op_CI_CI_sbrr_dirReg
    .private_segment_fixed_size: 0
    .sgpr_count:     45
    .sgpr_spill_count: 0
    .symbol:         fft_rtc_fwd_len182_factors_13_2_7_wgs_52_tpt_13_half_op_CI_CI_sbrr_dirReg.kd
    .uniform_work_group_size: 1
    .uses_dynamic_stack: false
    .vgpr_count:     102
    .vgpr_spill_count: 0
    .wavefront_size: 32
    .workgroup_processor_mode: 1
amdhsa.target:   amdgcn-amd-amdhsa--gfx1201
amdhsa.version:
  - 1
  - 2
...

	.end_amdgpu_metadata
